;; amdgpu-corpus repo=ROCm/rocFFT kind=compiled arch=gfx950 opt=O3
	.text
	.amdgcn_target "amdgcn-amd-amdhsa--gfx950"
	.amdhsa_code_object_version 6
	.protected	fft_rtc_fwd_len1666_factors_17_2_7_7_wgs_119_tpt_119_halfLds_sp_ip_CI_sbrr_dirReg ; -- Begin function fft_rtc_fwd_len1666_factors_17_2_7_7_wgs_119_tpt_119_halfLds_sp_ip_CI_sbrr_dirReg
	.globl	fft_rtc_fwd_len1666_factors_17_2_7_7_wgs_119_tpt_119_halfLds_sp_ip_CI_sbrr_dirReg
	.p2align	8
	.type	fft_rtc_fwd_len1666_factors_17_2_7_7_wgs_119_tpt_119_halfLds_sp_ip_CI_sbrr_dirReg,@function
fft_rtc_fwd_len1666_factors_17_2_7_7_wgs_119_tpt_119_halfLds_sp_ip_CI_sbrr_dirReg: ; @fft_rtc_fwd_len1666_factors_17_2_7_7_wgs_119_tpt_119_halfLds_sp_ip_CI_sbrr_dirReg
; %bb.0:
	s_load_dwordx2 s[12:13], s[0:1], 0x18
	s_load_dwordx4 s[4:7], s[0:1], 0x0
	s_load_dwordx2 s[10:11], s[0:1], 0x50
	v_mul_u32_u24_e32 v1, 0x227, v0
	v_add_u32_sdwa v6, s2, v1 dst_sel:DWORD dst_unused:UNUSED_PAD src0_sel:DWORD src1_sel:WORD_1
	s_waitcnt lgkmcnt(0)
	s_load_dwordx2 s[8:9], s[12:13], 0x0
	v_mov_b32_e32 v4, 0
	v_cmp_lt_u64_e64 s[2:3], s[6:7], 2
	v_mov_b32_e32 v7, v4
	s_and_b64 vcc, exec, s[2:3]
	v_mov_b64_e32 v[2:3], 0
	s_cbranch_vccnz .LBB0_8
; %bb.1:
	s_load_dwordx2 s[2:3], s[0:1], 0x10
	s_add_u32 s14, s12, 8
	s_addc_u32 s15, s13, 0
	s_mov_b64 s[16:17], 1
	v_mov_b64_e32 v[2:3], 0
	s_waitcnt lgkmcnt(0)
	s_add_u32 s18, s2, 8
	s_addc_u32 s19, s3, 0
.LBB0_2:                                ; =>This Inner Loop Header: Depth=1
	s_load_dwordx2 s[20:21], s[18:19], 0x0
                                        ; implicit-def: $vgpr8_vgpr9
	s_waitcnt lgkmcnt(0)
	v_or_b32_e32 v5, s21, v7
	v_cmp_ne_u64_e32 vcc, 0, v[4:5]
	s_and_saveexec_b64 s[2:3], vcc
	s_xor_b64 s[22:23], exec, s[2:3]
	s_cbranch_execz .LBB0_4
; %bb.3:                                ;   in Loop: Header=BB0_2 Depth=1
	v_cvt_f32_u32_e32 v1, s20
	v_cvt_f32_u32_e32 v5, s21
	s_sub_u32 s2, 0, s20
	s_subb_u32 s3, 0, s21
	v_fmac_f32_e32 v1, 0x4f800000, v5
	v_rcp_f32_e32 v1, v1
	s_nop 0
	v_mul_f32_e32 v1, 0x5f7ffffc, v1
	v_mul_f32_e32 v5, 0x2f800000, v1
	v_trunc_f32_e32 v5, v5
	v_fmac_f32_e32 v1, 0xcf800000, v5
	v_cvt_u32_f32_e32 v5, v5
	v_cvt_u32_f32_e32 v1, v1
	v_mul_lo_u32 v8, s2, v5
	v_mul_hi_u32 v10, s2, v1
	v_mul_lo_u32 v9, s3, v1
	v_add_u32_e32 v10, v10, v8
	v_mul_lo_u32 v12, s2, v1
	v_add_u32_e32 v13, v10, v9
	v_mul_hi_u32 v8, v1, v12
	v_mul_hi_u32 v11, v1, v13
	v_mul_lo_u32 v10, v1, v13
	v_mov_b32_e32 v9, v4
	v_lshl_add_u64 v[8:9], v[8:9], 0, v[10:11]
	v_mul_hi_u32 v11, v5, v12
	v_mul_lo_u32 v12, v5, v12
	v_add_co_u32_e32 v8, vcc, v8, v12
	v_mul_hi_u32 v10, v5, v13
	s_nop 0
	v_addc_co_u32_e32 v8, vcc, v9, v11, vcc
	v_mov_b32_e32 v9, v4
	s_nop 0
	v_addc_co_u32_e32 v11, vcc, 0, v10, vcc
	v_mul_lo_u32 v10, v5, v13
	v_lshl_add_u64 v[8:9], v[8:9], 0, v[10:11]
	v_add_co_u32_e32 v1, vcc, v1, v8
	v_mul_lo_u32 v10, s2, v1
	s_nop 0
	v_addc_co_u32_e32 v5, vcc, v5, v9, vcc
	v_mul_lo_u32 v8, s2, v5
	v_mul_hi_u32 v9, s2, v1
	v_add_u32_e32 v8, v9, v8
	v_mul_lo_u32 v9, s3, v1
	v_add_u32_e32 v12, v8, v9
	v_mul_hi_u32 v14, v5, v10
	v_mul_lo_u32 v15, v5, v10
	v_mul_hi_u32 v9, v1, v12
	v_mul_lo_u32 v8, v1, v12
	v_mul_hi_u32 v10, v1, v10
	v_mov_b32_e32 v11, v4
	v_lshl_add_u64 v[8:9], v[10:11], 0, v[8:9]
	v_add_co_u32_e32 v8, vcc, v8, v15
	v_mul_hi_u32 v13, v5, v12
	s_nop 0
	v_addc_co_u32_e32 v8, vcc, v9, v14, vcc
	v_mul_lo_u32 v10, v5, v12
	s_nop 0
	v_addc_co_u32_e32 v11, vcc, 0, v13, vcc
	v_mov_b32_e32 v9, v4
	v_lshl_add_u64 v[8:9], v[8:9], 0, v[10:11]
	v_add_co_u32_e32 v1, vcc, v1, v8
	v_mul_hi_u32 v10, v6, v1
	s_nop 0
	v_addc_co_u32_e32 v5, vcc, v5, v9, vcc
	v_mad_u64_u32 v[8:9], s[2:3], v6, v5, 0
	v_mov_b32_e32 v11, v4
	v_lshl_add_u64 v[8:9], v[10:11], 0, v[8:9]
	v_mad_u64_u32 v[12:13], s[2:3], v7, v1, 0
	v_add_co_u32_e32 v1, vcc, v8, v12
	v_mad_u64_u32 v[10:11], s[2:3], v7, v5, 0
	s_nop 0
	v_addc_co_u32_e32 v8, vcc, v9, v13, vcc
	v_mov_b32_e32 v9, v4
	s_nop 0
	v_addc_co_u32_e32 v11, vcc, 0, v11, vcc
	v_lshl_add_u64 v[8:9], v[8:9], 0, v[10:11]
	v_mul_lo_u32 v1, s21, v8
	v_mul_lo_u32 v5, s20, v9
	v_mad_u64_u32 v[10:11], s[2:3], s20, v8, 0
	v_add3_u32 v1, v11, v5, v1
	v_sub_u32_e32 v5, v7, v1
	v_mov_b32_e32 v11, s21
	v_sub_co_u32_e32 v14, vcc, v6, v10
	v_lshl_add_u64 v[12:13], v[8:9], 0, 1
	s_nop 0
	v_subb_co_u32_e64 v5, s[2:3], v5, v11, vcc
	v_subrev_co_u32_e64 v10, s[2:3], s20, v14
	v_subb_co_u32_e32 v1, vcc, v7, v1, vcc
	s_nop 0
	v_subbrev_co_u32_e64 v5, s[2:3], 0, v5, s[2:3]
	v_cmp_le_u32_e64 s[2:3], s21, v5
	v_cmp_le_u32_e32 vcc, s21, v1
	s_nop 0
	v_cndmask_b32_e64 v11, 0, -1, s[2:3]
	v_cmp_le_u32_e64 s[2:3], s20, v10
	s_nop 1
	v_cndmask_b32_e64 v10, 0, -1, s[2:3]
	v_cmp_eq_u32_e64 s[2:3], s21, v5
	s_nop 1
	v_cndmask_b32_e64 v5, v11, v10, s[2:3]
	v_lshl_add_u64 v[10:11], v[8:9], 0, 2
	v_cmp_ne_u32_e64 s[2:3], 0, v5
	s_nop 1
	v_cndmask_b32_e64 v5, v13, v11, s[2:3]
	v_cndmask_b32_e64 v11, 0, -1, vcc
	v_cmp_le_u32_e32 vcc, s20, v14
	s_nop 1
	v_cndmask_b32_e64 v13, 0, -1, vcc
	v_cmp_eq_u32_e32 vcc, s21, v1
	s_nop 1
	v_cndmask_b32_e32 v1, v11, v13, vcc
	v_cmp_ne_u32_e32 vcc, 0, v1
	v_cndmask_b32_e64 v1, v12, v10, s[2:3]
	s_nop 0
	v_cndmask_b32_e32 v9, v9, v5, vcc
	v_cndmask_b32_e32 v8, v8, v1, vcc
.LBB0_4:                                ;   in Loop: Header=BB0_2 Depth=1
	s_andn2_saveexec_b64 s[2:3], s[22:23]
	s_cbranch_execz .LBB0_6
; %bb.5:                                ;   in Loop: Header=BB0_2 Depth=1
	v_cvt_f32_u32_e32 v1, s20
	s_sub_i32 s22, 0, s20
	v_rcp_iflag_f32_e32 v1, v1
	s_nop 0
	v_mul_f32_e32 v1, 0x4f7ffffe, v1
	v_cvt_u32_f32_e32 v1, v1
	v_mul_lo_u32 v5, s22, v1
	v_mul_hi_u32 v5, v1, v5
	v_add_u32_e32 v1, v1, v5
	v_mul_hi_u32 v1, v6, v1
	v_mul_lo_u32 v5, v1, s20
	v_sub_u32_e32 v5, v6, v5
	v_add_u32_e32 v8, 1, v1
	v_subrev_u32_e32 v9, s20, v5
	v_cmp_le_u32_e32 vcc, s20, v5
	s_nop 1
	v_cndmask_b32_e32 v5, v5, v9, vcc
	v_cndmask_b32_e32 v1, v1, v8, vcc
	v_add_u32_e32 v8, 1, v1
	v_cmp_le_u32_e32 vcc, s20, v5
	v_mov_b32_e32 v9, v4
	s_nop 0
	v_cndmask_b32_e32 v8, v1, v8, vcc
.LBB0_6:                                ;   in Loop: Header=BB0_2 Depth=1
	s_or_b64 exec, exec, s[2:3]
	v_mad_u64_u32 v[10:11], s[2:3], v8, s20, 0
	s_load_dwordx2 s[2:3], s[14:15], 0x0
	v_mul_lo_u32 v1, v9, s20
	v_mul_lo_u32 v5, v8, s21
	v_add3_u32 v1, v11, v5, v1
	v_sub_co_u32_e32 v5, vcc, v6, v10
	s_add_u32 s16, s16, 1
	s_nop 0
	v_subb_co_u32_e32 v1, vcc, v7, v1, vcc
	s_addc_u32 s17, s17, 0
	s_waitcnt lgkmcnt(0)
	v_mul_lo_u32 v1, s2, v1
	v_mul_lo_u32 v6, s3, v5
	v_mad_u64_u32 v[2:3], s[2:3], s2, v5, v[2:3]
	s_add_u32 s14, s14, 8
	v_add3_u32 v3, v6, v3, v1
	s_addc_u32 s15, s15, 0
	v_mov_b64_e32 v[6:7], s[6:7]
	s_add_u32 s18, s18, 8
	v_cmp_ge_u64_e32 vcc, s[16:17], v[6:7]
	s_addc_u32 s19, s19, 0
	s_cbranch_vccnz .LBB0_9
; %bb.7:                                ;   in Loop: Header=BB0_2 Depth=1
	v_mov_b64_e32 v[6:7], v[8:9]
	s_branch .LBB0_2
.LBB0_8:
	v_mov_b64_e32 v[8:9], v[6:7]
.LBB0_9:
	s_lshl_b64 s[2:3], s[6:7], 3
	s_add_u32 s2, s12, s2
	s_addc_u32 s3, s13, s3
	s_load_dwordx2 s[6:7], s[2:3], 0x0
	s_load_dwordx2 s[12:13], s[0:1], 0x20
                                        ; implicit-def: $vgpr41
                                        ; implicit-def: $vgpr14
                                        ; implicit-def: $vgpr26
                                        ; implicit-def: $vgpr16
                                        ; implicit-def: $vgpr28
                                        ; implicit-def: $vgpr24
                                        ; implicit-def: $vgpr38
                                        ; implicit-def: $vgpr30
                                        ; implicit-def: $vgpr42
                                        ; implicit-def: $vgpr34
                                        ; implicit-def: $vgpr44
                                        ; implicit-def: $vgpr36
                                        ; implicit-def: $vgpr32
                                        ; implicit-def: $vgpr20
                                        ; implicit-def: $vgpr10
                                        ; implicit-def: $vgpr22
	s_waitcnt lgkmcnt(0)
	v_mad_u64_u32 v[2:3], s[0:1], s6, v8, v[2:3]
	v_mul_lo_u32 v1, s6, v9
	v_mul_lo_u32 v4, s7, v8
	s_mov_b32 s0, 0x226b903
	v_add3_u32 v3, v4, v3, v1
	v_mul_hi_u32 v1, v0, s0
	v_mul_u32_u24_e32 v1, 0x77, v1
	v_sub_u32_e32 v86, v0, v1
	s_movk_i32 s0, 0x62
	v_cmp_gt_u64_e32 vcc, s[12:13], v[8:9]
	v_cmp_gt_u32_e64 s[0:1], s0, v86
	s_and_b64 s[6:7], vcc, s[0:1]
	v_mov_b32_e32 v1, 0
	v_lshl_add_u64 v[12:13], v[2:3], 3, s[10:11]
	v_mov_b32_e32 v0, 0
	s_and_saveexec_b64 s[2:3], s[6:7]
	s_cbranch_execz .LBB0_11
; %bb.10:
	v_mad_u64_u32 v[0:1], s[6:7], s8, v86, 0
	v_mov_b32_e32 v2, v1
	v_mad_u64_u32 v[2:3], s[6:7], s9, v86, v[2:3]
	v_mov_b32_e32 v1, v2
	v_add_u32_e32 v5, 0x62, v86
	v_lshl_add_u64 v[2:3], v[0:1], 3, v[12:13]
	v_mad_u64_u32 v[0:1], s[6:7], s8, v5, 0
	v_mov_b32_e32 v4, v1
	v_mad_u64_u32 v[4:5], s[6:7], s9, v5, v[4:5]
	v_mov_b32_e32 v1, v4
	v_lshl_add_u64 v[4:5], v[0:1], 3, v[12:13]
	global_load_dwordx2 v[0:1], v[2:3], off
	global_load_dwordx2 v[10:11], v[4:5], off
	v_add_u32_e32 v5, 0xc4, v86
	v_mad_u64_u32 v[2:3], s[6:7], s8, v5, 0
	v_mov_b32_e32 v4, v3
	v_mad_u64_u32 v[4:5], s[6:7], s9, v5, v[4:5]
	v_add_u32_e32 v7, 0x126, v86
	v_mov_b32_e32 v3, v4
	v_mad_u64_u32 v[4:5], s[6:7], s8, v7, 0
	v_mov_b32_e32 v6, v5
	v_mad_u64_u32 v[6:7], s[6:7], s9, v7, v[6:7]
	v_add_u32_e32 v9, 0x188, v86
	v_mov_b32_e32 v5, v6
	;; [unrolled: 5-line block ×4, first 2 shown]
	v_mad_u64_u32 v[14:15], s[6:7], s8, v17, 0
	v_mov_b32_e32 v16, v15
	v_mad_u64_u32 v[16:17], s[6:7], s9, v17, v[16:17]
	v_mov_b32_e32 v15, v16
	v_add_u32_e32 v17, 0x2ae, v86
	v_lshl_add_u64 v[18:19], v[14:15], 3, v[12:13]
	v_mad_u64_u32 v[14:15], s[6:7], s8, v17, 0
	v_mov_b32_e32 v16, v15
	v_mad_u64_u32 v[16:17], s[6:7], s9, v17, v[16:17]
	v_mov_b32_e32 v15, v16
	v_add_u32_e32 v17, 0x310, v86
	v_lshl_add_u64 v[20:21], v[14:15], 3, v[12:13]
	;; [unrolled: 6-line block ×5, first 2 shown]
	v_mad_u64_u32 v[14:15], s[6:7], s8, v17, 0
	v_mov_b32_e32 v16, v15
	v_mad_u64_u32 v[16:17], s[6:7], s9, v17, v[16:17]
	v_mov_b32_e32 v15, v16
	v_lshl_add_u64 v[30:31], v[14:15], 3, v[12:13]
	global_load_dwordx2 v[14:15], v[22:23], off
	global_load_dwordx2 v[40:41], v[26:27], off
	;; [unrolled: 1-line block ×4, first 2 shown]
	v_add_u32_e32 v27, 0x498, v86
	v_mad_u64_u32 v[22:23], s[6:7], s8, v27, 0
	v_mov_b32_e32 v26, v23
	v_mad_u64_u32 v[26:27], s[6:7], s9, v27, v[26:27]
	v_add_u32_e32 v29, 0x4fa, v86
	v_mov_b32_e32 v23, v26
	v_mad_u64_u32 v[26:27], s[6:7], s8, v29, 0
	v_mov_b32_e32 v28, v27
	v_mad_u64_u32 v[28:29], s[6:7], s9, v29, v[28:29]
	v_lshl_add_u64 v[8:9], v[8:9], 3, v[12:13]
	v_mov_b32_e32 v27, v28
	v_lshl_add_u64 v[6:7], v[6:7], 3, v[12:13]
	v_lshl_add_u64 v[46:47], v[26:27], 3, v[12:13]
	global_load_dwordx2 v[26:27], v[20:21], off
	global_load_dwordx2 v[28:29], v[18:19], off
	;; [unrolled: 1-line block ×4, first 2 shown]
	v_add_u32_e32 v9, 0x55c, v86
	v_mad_u64_u32 v[6:7], s[6:7], s8, v9, 0
	v_mov_b32_e32 v8, v7
	v_mad_u64_u32 v[8:9], s[6:7], s9, v9, v[8:9]
	v_add_u32_e32 v19, 0x5be, v86
	v_mov_b32_e32 v7, v8
	v_mad_u64_u32 v[8:9], s[6:7], s8, v19, 0
	v_mov_b32_e32 v18, v9
	v_mad_u64_u32 v[18:19], s[6:7], s9, v19, v[18:19]
	v_lshl_add_u64 v[4:5], v[4:5], 3, v[12:13]
	v_mov_b32_e32 v9, v18
	v_lshl_add_u64 v[2:3], v[2:3], 3, v[12:13]
	v_lshl_add_u64 v[22:23], v[22:23], 3, v[12:13]
	;; [unrolled: 1-line block ×4, first 2 shown]
	global_load_dwordx2 v[44:45], v[4:5], off
	global_load_dwordx2 v[32:33], v[2:3], off
	;; [unrolled: 1-line block ×6, first 2 shown]
	v_add_u32_e32 v5, 0x620, v86
	v_mad_u64_u32 v[2:3], s[6:7], s8, v5, 0
	v_mov_b32_e32 v4, v3
	v_mad_u64_u32 v[4:5], s[6:7], s9, v5, v[4:5]
	v_mov_b32_e32 v3, v4
	v_lshl_add_u64 v[2:3], v[2:3], 3, v[12:13]
	global_load_dwordx2 v[22:23], v[2:3], off
.LBB0_11:
	s_or_b64 exec, exec, s[2:3]
	s_waitcnt vmcnt(1)
	v_pk_add_f32 v[18:19], v[32:33], v[20:21] neg_lo:[0,1] neg_hi:[0,1]
	v_pk_add_f32 v[2:3], v[26:27], v[16:17]
	v_pk_add_f32 v[8:9], v[26:27], v[16:17] neg_lo:[0,1] neg_hi:[0,1]
	v_pk_add_f32 v[4:5], v[14:15], v[40:41]
	v_pk_add_f32 v[6:7], v[14:15], v[40:41] neg_lo:[0,1] neg_hi:[0,1]
	s_and_saveexec_b64 s[2:3], s[0:1]
	s_cbranch_execz .LBB0_13
; %bb.12:
	v_pk_add_f32 v[52:53], v[44:45], v[36:37]
	v_pk_add_f32 v[46:47], v[44:45], v[36:37] neg_lo:[0,1] neg_hi:[0,1]
	v_mov_b32_e32 v56, v52
	v_mov_b32_e32 v57, v47
	s_mov_b32 s10, 0x3ee437d1
	s_mov_b32 s11, 0xbf65296c
	v_pk_mul_f32 v[50:51], v[56:57], s[10:11]
	v_pk_add_f32 v[54:55], v[42:43], v[34:35]
	v_pk_add_f32 v[48:49], v[42:43], v[34:35] neg_lo:[0,1] neg_hi:[0,1]
	v_mov_b32_e32 v59, v50
	v_pk_fma_f32 v[74:75], v[56:57], s[10:11], v[58:59] neg_lo:[1,0,0] neg_hi:[1,0,0]
	v_mov_b32_e32 v58, v54
	v_mov_b32_e32 v59, v49
	s_mov_b32 s17, 0xbf7ee86f
	s_mov_b32 s16, 0x3dbcf732
	v_pk_mul_f32 v[56:57], v[58:59], s[16:17]
	v_pk_add_f32 v[70:71], v[38:39], v[30:31]
	v_mov_b32_e32 v61, v56
	v_pk_add_f32 v[62:63], v[38:39], v[30:31] neg_lo:[0,1] neg_hi:[0,1]
	v_pk_fma_f32 v[76:77], v[58:59], s[16:17], v[60:61] neg_lo:[1,0,0] neg_hi:[1,0,0]
	v_mov_b32_e32 v60, v70
	v_mov_b32_e32 v61, v63
	s_mov_b32 s12, 0xbe8c1d8e
	s_mov_b32 s13, 0xbf763a35
	v_pk_mul_f32 v[58:59], v[60:61], s[12:13]
	v_pk_add_f32 v[72:73], v[28:29], v[24:25]
	v_mov_b32_e32 v65, v58
	v_pk_fma_f32 v[78:79], v[60:61], s[12:13], v[64:65] neg_lo:[1,0,0] neg_hi:[1,0,0]
	v_pk_add_f32 v[64:65], v[28:29], v[24:25] neg_lo:[0,1] neg_hi:[0,1]
	s_mov_b32 s22, 0xbf1a4643
	s_mov_b32 s23, 0xbf4c4adb
	v_mov_b32_e32 v66, v72
	v_mov_b32_e32 v67, v65
	v_pk_mul_f32 v[60:61], v[66:67], s[22:23]
	v_mov_b32_e32 v82, v28
	v_mov_b32_e32 v69, v60
	v_pk_fma_f32 v[80:81], v[66:67], s[22:23], v[68:69] neg_lo:[1,0,0] neg_hi:[1,0,0]
	v_mov_b32_e32 v67, v0
	v_mov_b32_e32 v66, v0
	v_pk_add_f32 v[68:69], v[66:67], v[10:11]
	s_waitcnt vmcnt(0)
	v_mov_b32_e32 v83, v22
	v_pk_add_f32 v[68:69], v[68:69], v[32:33]
	s_mov_b32 s24, 0xbf59a7d5
	v_pk_add_f32 v[68:69], v[68:69], v[44:45]
	s_mov_b32 s25, 0xbf06c442
	v_pk_add_f32 v[68:69], v[68:69], v[42:43]
	s_mov_b32 s15, s23
	v_pk_add_f32 v[68:69], v[68:69], v[38:39]
	s_mov_b32 s18, s23
	v_mov_b32_e32 v69, v10
	v_pk_add_f32 v[68:69], v[68:69], v[82:83]
	s_mov_b32 s27, s23
	s_mov_b32 s30, s23
	;; [unrolled: 1-line block ×8, first 2 shown]
	v_pk_add_f32 v[82:83], v[10:11], v[22:23] neg_lo:[0,1] neg_hi:[0,1]
	v_pk_mul_f32 v[84:85], v[68:69], s[22:23] op_sel:[1,0]
	v_pk_add_f32 v[90:91], v[32:33], v[20:21]
	v_mov_b32_e32 v66, v40
	s_mov_b32 s28, s21
	s_mov_b32 s29, s6
	v_pk_fma_f32 v[88:89], v[82:83], s[30:31], v[84:85] op_sel:[1,0,0]
	v_pk_mul_f32 v[92:93], v[90:91], s[34:35] op_sel_hi:[0,1]
	s_mov_b32 s53, 0x3f6eb680
	v_pk_add_f32 v[88:89], v[66:67], v[88:89] op_sel:[1,0]
	v_pk_fma_f32 v[94:95], v[18:19], s[28:29], v[92:93] op_sel:[1,0,0]
	s_mov_b32 s23, 0xbeb8f4ab
	s_mov_b32 s34, s53
	;; [unrolled: 1-line block ×3, first 2 shown]
	v_pk_add_f32 v[88:89], v[88:89], v[94:95]
	s_mov_b32 s40, s23
	s_mov_b32 s41, s17
	v_pk_mul_f32 v[94:95], v[52:53], s[34:35] op_sel_hi:[0,1]
	v_pk_fma_f32 v[96:97], v[46:47], s[40:41], v[94:95] op_sel:[1,0,0]
	s_mov_b32 s44, 0x3f4c4adb
	s_mov_b32 s34, s24
	;; [unrolled: 1-line block ×3, first 2 shown]
	v_pk_add_f32 v[88:89], v[88:89], v[96:97]
	s_mov_b32 s42, s25
	s_mov_b32 s43, s44
	v_pk_mul_f32 v[96:97], v[54:55], s[34:35] op_sel_hi:[0,1]
	v_pk_fma_f32 v[98:99], v[48:49], s[42:43], v[96:97] op_sel:[1,0,0]
	s_mov_b32 s51, 0x3f7ee86f
	s_mov_b32 s14, s17
	;; [unrolled: 1-line block ×5, first 2 shown]
	v_pk_add_f32 v[88:89], v[88:89], v[98:99]
	s_mov_b32 s46, s51
	s_mov_b32 s47, s23
	v_pk_mul_f32 v[98:99], v[70:71], s[16:17] op_sel_hi:[0,1]
	s_mov_b32 s64, 0xbf7ba420
	s_mov_b32 s62, 0x3f3d2fb0
	v_pk_fma_f32 v[100:101], v[62:63], s[46:47], v[98:99] op_sel:[1,0,0]
	s_mov_b32 s65, 0xbe3c28d5
	s_mov_b32 s63, 0xbf2c7751
	;; [unrolled: 1-line block ×4, first 2 shown]
	v_pk_add_f32 v[88:89], v[100:101], v[88:89]
	s_mov_b32 s48, s63
	s_mov_b32 s49, s65
	v_pk_mul_f32 v[100:101], v[72:73], s[34:35] op_sel_hi:[0,1]
	s_mov_b32 s34, 0x3f06c442
	v_pk_fma_f32 v[102:103], v[64:65], s[48:49], v[100:101] op_sel:[1,0,0]
	s_mov_b32 s35, 0x3f2c7751
	s_mov_b32 s36, s64
	;; [unrolled: 1-line block ×3, first 2 shown]
	v_pk_add_f32 v[88:89], v[102:103], v[88:89]
	s_mov_b32 s54, s65
	s_mov_b32 s55, s35
	v_pk_mul_f32 v[102:103], v[2:3], s[36:37] op_sel_hi:[0,1]
	v_pk_fma_f32 v[104:105], v[8:9], s[54:55], v[102:103] op_sel:[1,0,0]
	s_mov_b32 s37, s11
	s_mov_b32 s61, s11
	;; [unrolled: 1-line block ×4, first 2 shown]
	v_pk_add_f32 v[88:89], v[104:105], v[88:89]
	s_mov_b32 s69, s12
	s_mov_b32 s52, s12
	;; [unrolled: 1-line block ×5, first 2 shown]
	v_pk_mul_f32 v[104:105], v[4:5], s[10:11] op_sel_hi:[0,1]
	v_pk_fma_f32 v[106:107], v[6:7], s[12:13], v[104:105] op_sel:[1,0,0]
	s_movk_i32 s11, 0x44
	v_pk_add_f32 v[88:89], v[106:107], v[88:89]
	v_mad_u32_u24 v138, v86, s11, 0
	s_mov_b32 s70, s16
	ds_write2_b32 v138, v89, v88 offset0:10 offset1:11
	s_mov_b32 s72, s64
	s_mov_b32 s73, s24
	;; [unrolled: 1-line block ×3, first 2 shown]
	v_pk_mul_f32 v[88:89], v[68:69], s[70:71] op_sel:[1,0]
	s_mov_b32 s66, s65
	s_mov_b32 s67, s34
	v_pk_fma_f32 v[106:107], v[82:83], s[56:57], v[88:89] op_sel:[1,0,0]
	v_pk_mul_f32 v[108:109], v[90:91], s[72:73] op_sel_hi:[0,1]
	v_pk_add_f32 v[106:107], v[66:67], v[106:107] op_sel:[1,0]
	v_pk_fma_f32 v[110:111], v[18:19], s[66:67], v[108:109] op_sel:[1,0,0]
	s_mov_b32 s39, s62
	v_pk_add_f32 v[106:107], v[106:107], v[110:111]
	s_mov_b32 s70, s21
	s_mov_b32 s71, s35
	v_pk_mul_f32 v[110:111], v[52:53], s[38:39] op_sel_hi:[0,1]
	v_pk_fma_f32 v[112:113], v[46:47], s[70:71], v[110:111] op_sel:[1,0,0]
	s_mov_b32 s38, 0x3eb8f4ab
	s_mov_b32 s72, s53
	;; [unrolled: 1-line block ×3, first 2 shown]
	v_pk_add_f32 v[106:107], v[106:107], v[112:113]
	s_mov_b32 s60, s38
	v_pk_mul_f32 v[112:113], v[54:55], s[72:73] op_sel_hi:[0,1]
	v_pk_fma_f32 v[114:115], v[48:49], s[60:61], v[112:113] op_sel:[1,0,0]
	s_mov_b32 s72, s10
	s_mov_b32 s73, s64
	v_pk_add_f32 v[106:107], v[106:107], v[114:115]
	s_mov_b32 s59, s65
	v_pk_mul_f32 v[114:115], v[70:71], s[72:73] op_sel_hi:[0,1]
	v_pk_fma_f32 v[116:117], v[62:63], s[58:59], v[114:115] op_sel:[1,0,0]
	s_mov_b32 s72, s24
	s_mov_b32 s73, s16
	v_pk_add_f32 v[106:107], v[116:117], v[106:107]
	s_mov_b32 s50, s25
	v_pk_mul_f32 v[116:117], v[72:73], s[72:73] op_sel_hi:[0,1]
	v_pk_fma_f32 v[118:119], v[64:65], s[50:51], v[116:117] op_sel:[1,0,0]
	s_mov_b32 s45, s23
	v_pk_add_f32 v[106:107], v[118:119], v[106:107]
	v_pk_mul_f32 v[118:119], v[72:73], s[52:53] op_sel_hi:[0,1]
	s_mov_b32 s52, s22
	v_pk_mul_f32 v[120:121], v[2:3], s[52:53] op_sel_hi:[0,1]
	v_pk_fma_f32 v[122:123], v[8:9], s[44:45], v[120:121] op_sel:[1,0,0]
	s_mov_b32 s72, s62
	s_mov_b32 s73, s22
	v_pk_add_f32 v[106:107], v[122:123], v[106:107]
	s_mov_b32 s26, s35
	v_pk_mul_f32 v[122:123], v[4:5], s[72:73] op_sel_hi:[0,1]
	v_pk_fma_f32 v[124:125], v[6:7], s[26:27], v[122:123] op_sel:[1,0,0]
	v_mov_b32_e32 v135, 0x3f6eb680
	v_pk_add_f32 v[106:107], v[124:125], v[106:107]
	ds_write2_b32 v138, v107, v106 offset0:12 offset1:13
	v_mov_b32_e32 v106, v90
	v_mov_b32_e32 v107, v19
	;; [unrolled: 1-line block ×3, first 2 shown]
	v_mul_f32_e32 v137, 0xbeb8f4ab, v83
	v_mov_b32_e32 v136, v14
	v_pk_mul_f32 v[124:125], v[106:107], s[62:63]
	v_pk_fma_f32 v[134:135], v[68:69], v[134:135], v[136:137] neg_lo:[0,0,1] neg_hi:[0,0,1]
	v_pk_add_f32 v[136:137], v[68:69], v[26:27]
	v_mov_b32_e32 v73, v124
	v_pk_add_f32 v[136:137], v[136:137], v[14:15]
	v_pk_fma_f32 v[106:107], v[106:107], s[62:63], v[72:73] neg_lo:[1,0,0] neg_hi:[1,0,0]
	v_mov_b32_e32 v137, v135
	v_pk_add_f32 v[134:135], v[136:137], v[66:67]
	v_mov_b32_e32 v106, v16
	v_mov_b32_e32 v126, v2
	;; [unrolled: 1-line block ×3, first 2 shown]
	v_pk_add_f32 v[106:107], v[134:135], v[106:107]
	v_mov_b32_e32 v74, v24
	v_pk_mul_f32 v[128:129], v[126:127], s[24:25]
	v_mov_b32_e32 v130, v4
	v_mov_b32_e32 v131, v7
	v_pk_add_f32 v[74:75], v[106:107], v[74:75]
	v_mov_b32_e32 v76, v30
	v_mov_b32_e32 v73, v128
	v_pk_mul_f32 v[132:133], v[130:131], s[64:65]
	v_pk_add_f32 v[74:75], v[74:75], v[76:77]
	v_mov_b32_e32 v78, v34
	v_pk_fma_f32 v[126:127], v[126:127], s[24:25], v[72:73] neg_lo:[1,0,0] neg_hi:[1,0,0]
	v_mov_b32_e32 v73, v132
	v_pk_add_f32 v[74:75], v[74:75], v[78:79]
	v_mov_b32_e32 v80, v36
	v_pk_fma_f32 v[130:131], v[130:131], s[64:65], v[72:73] neg_lo:[1,0,0] neg_hi:[1,0,0]
	v_pk_add_f32 v[74:75], v[80:81], v[74:75]
	v_mov_b32_e32 v126, v20
	v_pk_add_f32 v[74:75], v[126:127], v[74:75]
	v_mov_b32_e32 v130, v22
	v_pk_add_f32 v[74:75], v[130:131], v[74:75]
	s_mov_b32 s74, s62
	s_mov_b32 s75, s10
	ds_write2_b32 v138, v74, v75 offset1:1
	s_mov_b32 s72, s16
	s_mov_b32 s36, s63
	v_pk_mul_f32 v[74:75], v[68:69], s[74:75] op_sel:[1,0]
	v_pk_mul_f32 v[78:79], v[90:91], s[72:73] op_sel_hi:[0,1]
	v_pk_fma_f32 v[76:77], v[82:83], s[36:37], v[74:75] op_sel:[1,0,0] neg_lo:[1,0,0] neg_hi:[1,0,0]
	v_pk_fma_f32 v[80:81], v[18:19], s[14:15], v[78:79] op_sel:[1,0,0] neg_lo:[1,0,0] neg_hi:[1,0,0]
	v_pk_add_f32 v[76:77], v[66:67], v[76:77] op_sel:[1,0]
	s_mov_b32 s72, s22
	s_mov_b32 s73, s64
	v_pk_add_f32 v[76:77], v[76:77], v[80:81]
	s_mov_b32 s19, 0x3e3c28d5
	v_pk_mul_f32 v[80:81], v[52:53], s[72:73] op_sel_hi:[0,1]
	v_pk_fma_f32 v[106:107], v[46:47], s[18:19], v[80:81] op_sel:[1,0,0] neg_lo:[1,0,0] neg_hi:[1,0,0]
	s_mov_b32 s68, s64
	v_pk_add_f32 v[76:77], v[76:77], v[106:107]
	s_mov_b32 s20, s65
	v_pk_mul_f32 v[106:107], v[54:55], s[68:69] op_sel_hi:[0,1]
	v_pk_fma_f32 v[126:127], v[48:49], s[20:21], v[106:107] op_sel:[1,0,0] neg_lo:[1,0,0] neg_hi:[1,0,0]
	s_mov_b32 s64, s24
	s_mov_b32 s65, s62
	v_pk_add_f32 v[76:77], v[76:77], v[126:127]
	v_pk_mul_f32 v[126:127], v[70:71], s[64:65] op_sel_hi:[0,1]
	v_pk_fma_f32 v[130:131], v[62:63], s[34:35], v[126:127] op_sel:[1,0,0] neg_lo:[1,0,0] neg_hi:[1,0,0]
	s_mov_b32 s22, s21
	v_pk_add_f32 v[76:77], v[130:131], v[76:77]
	v_pk_fma_f32 v[130:131], v[64:65], s[22:23], v[118:119] op_sel:[1,0,0] neg_lo:[1,0,0] neg_hi:[1,0,0]
	s_mov_b32 s11, s16
	v_pk_add_f32 v[76:77], v[130:131], v[76:77]
	v_pk_mul_f32 v[130:131], v[2:3], s[10:11] op_sel_hi:[0,1]
	v_pk_fma_f32 v[134:135], v[8:9], s[6:7], v[130:131] op_sel:[1,0,0] neg_lo:[1,0,0] neg_hi:[1,0,0]
	s_mov_b32 s10, s53
	s_mov_b32 s11, s24
	v_pk_add_f32 v[76:77], v[134:135], v[76:77]
	s_mov_b32 s39, s25
	v_pk_mul_f32 v[134:135], v[4:5], s[10:11] op_sel_hi:[0,1]
	v_pk_fma_f32 v[136:137], v[6:7], s[38:39], v[134:135] op_sel:[1,0,0] neg_lo:[1,0,0] neg_hi:[1,0,0]
	v_pk_fma_f32 v[88:89], v[82:83], s[56:57], v[88:89] op_sel:[1,0,0] neg_lo:[1,0,0] neg_hi:[1,0,0]
	v_pk_add_f32 v[76:77], v[136:137], v[76:77]
	ds_write2_b32 v138, v76, v77 offset0:2 offset1:3
	v_pk_fma_f32 v[76:77], v[18:19], s[66:67], v[108:109] op_sel:[1,0,0] neg_lo:[1,0,0] neg_hi:[1,0,0]
	v_pk_add_f32 v[88:89], v[66:67], v[88:89] op_sel:[1,0]
	v_pk_fma_f32 v[84:85], v[82:83], s[30:31], v[84:85] op_sel:[1,0,0] neg_lo:[1,0,0] neg_hi:[1,0,0]
	v_pk_add_f32 v[76:77], v[88:89], v[76:77]
	v_pk_fma_f32 v[88:89], v[46:47], s[70:71], v[110:111] op_sel:[1,0,0] neg_lo:[1,0,0] neg_hi:[1,0,0]
	v_pk_add_f32 v[84:85], v[66:67], v[84:85] op_sel:[1,0]
	v_pk_add_f32 v[76:77], v[76:77], v[88:89]
	v_pk_fma_f32 v[88:89], v[48:49], s[60:61], v[112:113] op_sel:[1,0,0] neg_lo:[1,0,0] neg_hi:[1,0,0]
	v_mul_f32_e32 v14, 0x3f6eb680, v90
	v_pk_add_f32 v[76:77], v[76:77], v[88:89]
	v_pk_fma_f32 v[88:89], v[62:63], s[58:59], v[114:115] op_sel:[1,0,0] neg_lo:[1,0,0] neg_hi:[1,0,0]
	v_mul_f32_e32 v16, 0x3eb8f4ab, v19
	v_pk_add_f32 v[76:77], v[88:89], v[76:77]
	v_pk_fma_f32 v[88:89], v[64:65], s[50:51], v[116:117] op_sel:[1,0,0] neg_lo:[1,0,0] neg_hi:[1,0,0]
	v_add_f32_e32 v20, v51, v50
	v_pk_add_f32 v[76:77], v[88:89], v[76:77]
	v_pk_fma_f32 v[88:89], v[8:9], s[44:45], v[120:121] op_sel:[1,0,0] neg_lo:[1,0,0] neg_hi:[1,0,0]
	v_add_f32_e32 v26, v57, v56
	;; [unrolled: 3-line block ×3, first 2 shown]
	v_pk_add_f32 v[76:77], v[88:89], v[76:77]
	ds_write2_b32 v138, v76, v77 offset0:4 offset1:5
	v_pk_fma_f32 v[76:77], v[18:19], s[28:29], v[92:93] op_sel:[1,0,0] neg_lo:[1,0,0] neg_hi:[1,0,0]
	v_add_f32_e32 v50, v61, v60
	v_pk_add_f32 v[76:77], v[84:85], v[76:77]
	v_pk_fma_f32 v[84:85], v[46:47], s[40:41], v[94:95] op_sel:[1,0,0] neg_lo:[1,0,0] neg_hi:[1,0,0]
	v_add_f32_e32 v51, v129, v128
	v_pk_add_f32 v[76:77], v[76:77], v[84:85]
	;; [unrolled: 3-line block ×3, first 2 shown]
	v_pk_fma_f32 v[84:85], v[62:63], s[46:47], v[98:99] op_sel:[1,0,0] neg_lo:[1,0,0] neg_hi:[1,0,0]
	s_nop 0
	v_pk_add_f32 v[76:77], v[84:85], v[76:77]
	v_pk_fma_f32 v[84:85], v[64:65], s[48:49], v[100:101] op_sel:[1,0,0] neg_lo:[1,0,0] neg_hi:[1,0,0]
	s_nop 0
	v_pk_add_f32 v[76:77], v[84:85], v[76:77]
	;; [unrolled: 3-line block ×4, first 2 shown]
	ds_write2_b32 v138, v76, v77 offset0:6 offset1:7
	v_pk_add_f32 v[76:77], v[14:15], v[16:17] neg_lo:[0,1] neg_hi:[0,1]
	v_pk_add_f32 v[84:85], v[14:15], v[16:17]
	v_mul_f32_e32 v14, 0xbf59a7d5, v52
	v_mul_f32_e32 v16, 0xbf06c442, v47
	v_mov_b32_e32 v77, v84
	v_pk_add_f32 v[52:53], v[14:15], v[16:17] neg_lo:[0,1] neg_hi:[0,1]
	v_pk_add_f32 v[84:85], v[14:15], v[16:17]
	v_mul_f32_e32 v14, 0x3f3d2fb0, v54
	v_mul_f32_e32 v16, 0x3f2c7751, v49
	v_mov_b32_e32 v53, v84
	;; [unrolled: 5-line block ×7, first 2 shown]
	v_pk_add_f32 v[90:91], v[16:17], v[14:15] neg_lo:[0,1] neg_hi:[0,1]
	v_pk_add_f32 v[92:93], v[16:17], v[14:15]
	v_mul_f32_e32 v14, 0x3f6eb680, v69
	v_mov_b32_e32 v91, v92
	v_pk_add_f32 v[90:91], v[66:67], v[90:91] op_sel:[1,0]
	v_fmac_f32_e32 v14, 0xbeb8f4ab, v83
	v_pk_add_f32 v[76:77], v[90:91], v[76:77]
	v_add_f32_e32 v16, v125, v124
	v_pk_add_f32 v[52:53], v[76:77], v[52:53]
	v_add_f32_e32 v0, v0, v14
	v_pk_add_f32 v[52:53], v[52:53], v[54:55]
	v_pk_fma_f32 v[54:55], v[64:65], s[22:23], v[118:119] op_sel:[1,0,0]
	v_pk_add_f32 v[52:53], v[70:71], v[52:53]
	v_pk_fma_f32 v[64:65], v[18:19], s[14:15], v[78:79] op_sel:[1,0,0]
	v_pk_add_f32 v[52:53], v[72:73], v[52:53]
	v_add_f32_e32 v0, v0, v16
	v_pk_add_f32 v[52:53], v[84:85], v[52:53]
	v_pk_fma_f32 v[46:47], v[46:47], s[18:19], v[80:81] op_sel:[1,0,0]
	v_pk_add_f32 v[52:53], v[88:89], v[52:53]
	ds_write2_b32 v138, v52, v53 offset0:8 offset1:9
	v_pk_fma_f32 v[52:53], v[62:63], s[34:35], v[126:127] op_sel:[1,0,0]
	v_pk_fma_f32 v[62:63], v[82:83], s[36:37], v[74:75] op_sel:[1,0,0]
	v_add_f32_e32 v0, v0, v20
	v_pk_add_f32 v[62:63], v[66:67], v[62:63] op_sel:[1,0]
	v_pk_fma_f32 v[48:49], v[48:49], s[20:21], v[106:107] op_sel:[1,0,0]
	v_pk_add_f32 v[62:63], v[62:63], v[64:65]
	v_add_f32_e32 v0, v0, v26
	v_pk_add_f32 v[46:47], v[62:63], v[46:47]
	v_add_f32_e32 v0, v40, v0
	;; [unrolled: 2-line block ×4, first 2 shown]
	v_pk_fma_f32 v[50:51], v[8:9], s[6:7], v[130:131] op_sel:[1,0,0]
	v_pk_add_f32 v[46:47], v[54:55], v[46:47]
	v_add_f32_e32 v14, v56, v0
	v_pk_fma_f32 v[56:57], v[6:7], s[38:39], v[134:135] op_sel:[1,0,0]
	v_pk_add_f32 v[46:47], v[50:51], v[46:47]
	s_nop 0
	v_pk_add_f32 v[46:47], v[56:57], v[46:47]
	ds_write2_b32 v138, v47, v46 offset0:14 offset1:15
	ds_write_b32 v138, v14 offset:64
	v_mov_b32_e32 v0, v47
.LBB0_13:
	s_or_b64 exec, exec, s[2:3]
	v_lshl_add_u32 v26, v86, 2, 0
	v_add_u32_e32 v70, 0xee, v86
	v_add_u32_e32 v58, 0xa00, v26
	v_add_u32_e32 v16, 0xe00, v26
	v_add_u32_e32 v69, 0x165, v86
	v_lshl_add_u32 v56, v70, 2, 0
	v_add_u32_e32 v59, 0x1200, v26
	v_add_u32_e32 v67, 0x253, v86
	;; [unrolled: 1-line block ×3, first 2 shown]
	s_waitcnt lgkmcnt(0)
	s_barrier
	ds_read2_b32 v[48:49], v26 offset1:119
	ds_read2_b32 v[46:47], v58 offset0:74 offset1:193
	ds_read2_b32 v[50:51], v16 offset0:56 offset1:175
	v_lshl_add_u32 v65, v69, 2, 0
	ds_read2_b32 v[52:53], v59 offset0:38 offset1:157
	v_lshl_add_u32 v57, v68, 2, 0
	v_lshl_add_u32 v66, v67, 2, 0
	ds_read_b32 v64, v56
	ds_read_b32 v63, v65
	;; [unrolled: 1-line block ×4, first 2 shown]
	v_add_u32_e32 v60, 0x1600, v26
	ds_read2_b32 v[54:55], v60 offset0:20 offset1:139
	s_waitcnt lgkmcnt(0)
	s_barrier
	s_and_saveexec_b64 s[2:3], s[0:1]
	s_cbranch_execz .LBB0_15
; %bb.14:
	v_mov_b32_e32 v0, v41
	v_pk_add_f32 v[40:41], v[0:1], v[10:11]
	v_mov_b32_e32 v74, v37
	v_pk_add_f32 v[40:41], v[40:41], v[32:33]
	;; [unrolled: 2-line block ×3, first 2 shown]
	s_mov_b32 s1, 0xbf65296c
	v_pk_add_f32 v[40:41], v[40:41], v[42:43]
	s_mov_b32 s0, 0x3ee437d1
	v_pk_add_f32 v[72:73], v[40:41], v[38:39]
	v_mov_b32_e32 v40, v45
	v_mov_b32_e32 v41, v43
	;; [unrolled: 1-line block ×5, first 2 shown]
	v_pk_add_f32 v[40:41], v[40:41], v[74:75]
	v_pk_add_f32 v[44:45], v[44:45], v[42:43] neg_lo:[0,1] neg_hi:[0,1]
	v_mov_b32_e32 v42, v40
	v_mov_b32_e32 v43, v44
	v_pk_mul_f32 v[74:75], v[42:43], s[0:1]
	s_mov_b32 s10, 0xbf06c442
	v_mov_b32_e32 v71, v74
	v_sub_f32_e32 v87, v74, v75
	s_mov_b32 s12, 0xbf59a7d5
	s_mov_b32 s11, 0x3f2c7751
	v_mov_b32_e32 v74, v41
	v_mov_b32_e32 v75, v45
	s_mov_b32 s7, 0xbf7ee86f
	s_mov_b32 s6, 0x3dbcf732
	v_pk_fma_f32 v[76:77], v[42:43], s[0:1], v[70:71]
	s_mov_b32 s13, 0x3f3d2fb0
	v_pk_mul_f32 v[42:43], v[44:45], s[10:11]
	v_pk_mul_f32 v[78:79], v[74:75], s[6:7]
	v_pk_fma_f32 v[80:81], v[40:41], s[12:13], v[42:43] neg_lo:[0,0,1] neg_hi:[0,0,1]
	v_mov_b32_e32 v71, v78
	v_sub_f32_e32 v96, v78, v79
	v_pk_fma_f32 v[78:79], v[40:41], s[12:13], v[42:43]
	v_mov_b32_e32 v42, v29
	v_mov_b32_e32 v43, v39
	;; [unrolled: 1-line block ×4, first 2 shown]
	v_pk_add_f32 v[42:43], v[42:43], v[82:83]
	v_mov_b32_e32 v82, v28
	v_mov_b32_e32 v83, v38
	;; [unrolled: 1-line block ×4, first 2 shown]
	v_pk_add_f32 v[38:39], v[82:83], v[38:39] neg_lo:[0,1] neg_hi:[0,1]
	s_mov_b32 s14, 0xbe8c1d8e
	v_mov_b32_e32 v82, v43
	v_mov_b32_e32 v83, v39
	s_mov_b32 s15, 0xbf763a35
	s_mov_b32 s17, 0xbf1a4643
	;; [unrolled: 1-line block ×3, first 2 shown]
	v_pk_mul_f32 v[84:85], v[82:83], s[14:15]
	v_mov_b32_e32 v88, v42
	v_mov_b32_e32 v89, v38
	s_mov_b32 s20, s17
	s_mov_b32 s21, s19
	v_pk_fma_f32 v[74:75], v[74:75], s[6:7], v[70:71]
	v_mov_b32_e32 v71, v84
	v_pk_mul_f32 v[90:91], v[88:89], s[20:21]
	v_mov_b32_e32 v72, v73
	v_mov_b32_e32 v73, v11
	;; [unrolled: 1-line block ×3, first 2 shown]
	s_waitcnt vmcnt(0)
	v_mov_b32_e32 v20, v22
	v_pk_fma_f32 v[82:83], v[82:83], s[14:15], v[70:71]
	v_mov_b32_e32 v71, v90
	v_mov_b32_e32 v28, v29
	;; [unrolled: 1-line block ×4, first 2 shown]
	v_pk_add_f32 v[24:25], v[10:11], v[20:21] neg_lo:[0,1] neg_hi:[0,1]
	v_pk_add_f32 v[10:11], v[10:11], v[20:21]
	v_pk_fma_f32 v[88:89], v[88:89], s[20:21], v[70:71]
	v_pk_add_f32 v[28:29], v[72:73], v[28:29]
	v_mov_b32_e32 v73, 0x3f6eb680
	v_mov_b32_e32 v72, v27
	;; [unrolled: 1-line block ×5, first 2 shown]
	s_mov_b32 s25, 0xbf2c7751
	s_mov_b32 s24, s13
	v_pk_add_f32 v[92:93], v[28:29], v[72:73]
	v_pk_mul_f32 v[72:73], v[28:29], v[72:73]
	v_mov_b32_e32 v88, v37
	v_pk_mul_f32 v[36:37], v[34:35], s[24:25]
	v_mov_b32_e32 v93, v73
	v_mul_f32_e32 v33, 0xbeb8f4ab, v24
	v_mov_b32_e32 v27, v36
	v_mov_b32_e32 v32, v15
	v_pk_fma_f32 v[34:35], v[34:35], s[24:25], v[26:27]
	v_pk_add_f32 v[14:15], v[92:93], v[32:33]
	v_mov_b32_e32 v34, v17
	v_pk_add_f32 v[14:15], v[14:15], v[0:1]
	v_mov_b32_e32 v74, v31
	v_pk_add_f32 v[14:15], v[14:15], v[34:35]
	s_mov_b32 s21, 0x3f6eb680
	v_pk_add_f32 v[14:15], v[14:15], v[76:77]
	v_mov_b32_e32 v30, v24
	v_mov_b32_e32 v31, v11
	s_mov_b32 s20, 0xbe3c28d5
	v_mov_b32_e32 v94, v29
	v_mov_b32_e32 v95, v18
	s_mov_b32 s23, 0x3eb8f4ab
	s_mov_b32 s22, 0xbf7ba420
	v_pk_add_f32 v[14:15], v[14:15], v[74:75]
	v_fmac_f32_e32 v73, 0x3eb8f4ab, v24
	v_sub_f32_e32 v22, v36, v37
	v_pk_mul_f32 v[36:37], v[30:31], s[20:21]
	v_pk_mul_f32 v[94:95], v[94:95], s[22:23]
	v_pk_add_f32 v[14:15], v[14:15], v[82:83]
	v_add_f32_e32 v17, v1, v73
	v_pk_add_f32 v[32:33], v[88:89], v[14:15]
	v_pk_fma_f32 v[14:15], v[30:31], s[20:21], v[94:95]
	v_mov_b32_e32 v20, v1
	v_mov_b32_e32 v34, v94
	v_mov_b32_e32 v35, v37
	v_mov_b32_e32 v37, v95
	v_add_f32_e32 v17, v17, v22
	v_pk_add_f32 v[30:31], v[20:21], v[14:15]
	v_pk_add_f32 v[34:35], v[34:35], v[36:37] neg_lo:[0,1] neg_hi:[0,1]
	v_mov_b32_e32 v14, v15
	v_add_f32_e32 v17, v17, v87
	v_sub_f32_e32 v97, v84, v85
	s_mov_b32 s18, 0x3f65296c
	v_pk_add_f32 v[36:37], v[20:21], v[34:35]
	v_pk_add_f32 v[14:15], v[30:31], v[14:15]
	v_mov_b32_e32 v20, v35
	v_add_f32_e32 v17, v17, v96
	v_mov_b32_e32 v34, v3
	v_mov_b32_e32 v35, v8
	s_mov_b32 s28, s12
	s_mov_b32 s29, s10
	;; [unrolled: 1-line block ×3, first 2 shown]
	v_pk_mul_f32 v[84:85], v[38:39], s[18:19]
	v_sub_f32_e32 v71, v90, v91
	v_pk_add_f32 v[30:31], v[36:37], v[20:21]
	v_pk_add_f32 v[14:15], v[14:15], v[78:79]
	v_mov_b32_e32 v20, v79
	v_add_f32_e32 v17, v97, v17
	v_pk_mul_f32 v[36:37], v[34:35], s[28:29]
	v_pk_fma_f32 v[90:91], v[42:43], s[16:17], v[84:85]
	v_pk_add_f32 v[30:31], v[30:31], v[80:81]
	v_pk_add_f32 v[14:15], v[14:15], v[20:21]
	v_mov_b32_e32 v20, v81
	v_add_f32_e32 v22, v71, v17
	v_mov_b32_e32 v17, v36
	v_pk_fma_f32 v[84:85], v[42:43], s[16:17], v[84:85] neg_lo:[0,0,1] neg_hi:[0,0,1]
	v_pk_add_f32 v[30:31], v[30:31], v[20:21]
	v_mov_b32_e32 v20, v91
	v_pk_fma_f32 v[72:73], v[34:35], s[28:29], v[16:17]
	v_pk_add_f32 v[14:15], v[20:21], v[14:15]
	v_mov_b32_e32 v20, v85
	v_mov_b32_e32 v72, v21
	v_pk_add_f32 v[30:31], v[20:21], v[30:31]
	v_pk_add_f32 v[20:21], v[72:73], v[32:33]
	v_sub_f32_e32 v17, v36, v37
	v_pk_mul_f32 v[32:33], v[34:35], s[14:15]
	v_add_f32_e32 v27, v17, v22
	v_mov_b32_e32 v22, v33
	v_mov_b32_e32 v17, v32
	v_pk_fma_f32 v[36:37], v[34:35], s[14:15], v[22:23]
	v_pk_fma_f32 v[32:33], v[34:35], s[14:15], v[16:17] neg_lo:[1,0,0] neg_hi:[1,0,0]
	v_mov_b32_e32 v34, v5
	v_mov_b32_e32 v35, v6
	s_mov_b32 s28, s22
	s_mov_b32 s29, s20
	v_pk_mul_f32 v[72:73], v[34:35], s[28:29]
	s_mov_b32 s40, s13
	v_mov_b32_e32 v17, v72
	v_pk_fma_f32 v[34:35], v[34:35], s[28:29], v[16:17]
	s_mov_b32 s28, s25
	s_mov_b32 s29, s1
	v_mov_b32_e32 v34, v23
	v_pk_mul_f32 v[22:23], v[24:25], s[28:29] op_sel_hi:[0,1]
	s_mov_b32 s28, s7
	s_mov_b32 s29, s19
	;; [unrolled: 1-line block ×3, first 2 shown]
	v_pk_add_f32 v[20:21], v[34:35], v[20:21]
	s_mov_b32 s16, s6
	v_pk_mul_f32 v[34:35], v[18:19], s[28:29] op_sel_hi:[0,1]
	s_mov_b32 s29, 0x3e3c28d5
	s_mov_b32 s28, s19
	v_pk_fma_f32 v[92:93], v[28:29], s[40:41], v[22:23] op_sel:[1,0,0]
	v_sub_f32_e32 v17, v72, v73
	v_pk_fma_f32 v[72:73], v[10:11], s[16:17], v[34:35] op_sel:[1,0,0]
	s_mov_b32 s30, s17
	s_mov_b32 s31, s22
	v_pk_mul_f32 v[74:75], v[44:45], s[28:29] op_sel_hi:[0,1]
	s_mov_b32 s29, 0x3f763a35
	s_mov_b32 s28, s20
	v_pk_add_f32 v[92:93], v[0:1], v[92:93] op_sel:[1,0]
	v_pk_fma_f32 v[76:77], v[40:41], s[30:31], v[74:75] op_sel_hi:[0,1,1]
	s_mov_b32 s34, s22
	s_mov_b32 s35, s14
	v_pk_mul_f32 v[78:79], v[44:45], s[28:29] op_sel:[1,0]
	s_mov_b32 s36, 0x3f06c442
	s_mov_b32 s37, s11
	v_pk_add_f32 v[72:73], v[92:93], v[72:73]
	s_mov_b32 s27, 0xbeb8f4ab
	v_pk_fma_f32 v[80:81], v[40:41], s[34:35], v[78:79] op_sel:[1,0,0]
	v_pk_mul_f32 v[82:83], v[38:39], s[36:37] op_sel:[1,0]
	s_mov_b32 s26, s29
	v_pk_add_f32 v[72:73], v[72:73], v[76:77]
	v_pk_add_f32 v[30:31], v[84:85], v[30:31]
	v_pk_fma_f32 v[84:85], v[42:43], s[12:13], v[82:83] op_sel:[1,0,0]
	s_mov_b32 s38, s14
	s_mov_b32 s39, s21
	v_pk_mul_f32 v[88:89], v[38:39], s[26:27] op_sel_hi:[0,1]
	v_pk_add_f32 v[72:73], v[72:73], v[80:81]
	s_mov_b32 s44, s18
	s_mov_b32 s45, s7
	v_pk_fma_f32 v[22:23], v[28:29], s[40:41], v[22:23] op_sel:[1,0,0] neg_lo:[0,0,1] neg_hi:[0,0,1]
	v_pk_add_f32 v[14:15], v[90:91], v[14:15]
	v_pk_fma_f32 v[90:91], v[42:43], s[38:39], v[88:89] op_sel_hi:[0,1,1]
	v_pk_add_f32 v[72:73], v[84:85], v[72:73]
	s_mov_b32 s42, s0
	s_mov_b32 s43, s6
	v_pk_mul_f32 v[76:77], v[8:9], s[44:45] op_sel_hi:[0,1]
	v_pk_fma_f32 v[34:35], v[10:11], s[16:17], v[34:35] op_sel:[1,0,0] neg_lo:[0,0,1] neg_hi:[0,0,1]
	v_pk_add_f32 v[22:23], v[0:1], v[22:23] op_sel:[1,0]
	v_pk_add_f32 v[72:73], v[90:91], v[72:73]
	v_pk_fma_f32 v[80:81], v[2:3], s[42:43], v[76:77] op_sel:[1,0,0]
	s_mov_b32 s46, s23
	s_mov_b32 s47, s10
	v_pk_fma_f32 v[74:75], v[40:41], s[30:31], v[74:75] op_sel_hi:[0,1,1] neg_lo:[0,0,1] neg_hi:[0,0,1]
	v_pk_add_f32 v[22:23], v[22:23], v[34:35]
	v_pk_add_f32 v[72:73], v[80:81], v[72:73]
	s_mov_b32 s44, s21
	s_mov_b32 s45, s12
	v_pk_mul_f32 v[80:81], v[6:7], s[46:47] op_sel_hi:[0,1]
	v_pk_fma_f32 v[78:79], v[40:41], s[34:35], v[78:79] op_sel:[1,0,0] neg_lo:[0,0,1] neg_hi:[0,0,1]
	v_pk_add_f32 v[22:23], v[22:23], v[74:75]
	v_pk_fma_f32 v[84:85], v[4:5], s[44:45], v[80:81] op_sel:[1,0,0]
	v_pk_fma_f32 v[82:83], v[42:43], s[12:13], v[82:83] op_sel:[1,0,0] neg_lo:[0,0,1] neg_hi:[0,0,1]
	v_pk_add_f32 v[22:23], v[22:23], v[78:79]
	v_pk_add_f32 v[72:73], v[84:85], v[72:73]
	v_pk_fma_f32 v[84:85], v[42:43], s[38:39], v[88:89] op_sel_hi:[0,1,1] neg_lo:[0,0,1] neg_hi:[0,0,1]
	v_pk_add_f32 v[22:23], v[82:83], v[22:23]
	v_pk_fma_f32 v[34:35], v[2:3], s[42:43], v[76:77] op_sel:[1,0,0] neg_lo:[0,0,1] neg_hi:[0,0,1]
	v_pk_add_f32 v[22:23], v[84:85], v[22:23]
	s_mov_b32 s30, s7
	v_pk_add_f32 v[22:23], v[34:35], v[22:23]
	v_pk_fma_f32 v[34:35], v[4:5], s[44:45], v[80:81] op_sel:[1,0,0] neg_lo:[0,0,1] neg_hi:[0,0,1]
	s_mov_b32 s31, s15
	v_pk_add_f32 v[22:23], v[34:35], v[22:23]
	v_pk_mul_f32 v[34:35], v[24:25], s[30:31] op_sel_hi:[0,1]
	s_mov_b32 s34, s20
	s_mov_b32 s35, s36
	;; [unrolled: 1-line block ×6, first 2 shown]
	v_pk_mul_f32 v[74:75], v[18:19], s[34:35] op_sel_hi:[0,1]
	s_mov_b32 s36, s29
	v_pk_fma_f32 v[96:97], v[28:29], s[44:45], v[34:35] op_sel:[1,0,0]
	v_pk_fma_f32 v[76:77], v[10:11], s[30:31], v[74:75] op_sel:[1,0,0]
	s_mov_b32 s34, s14
	s_mov_b32 s35, s13
	v_pk_mul_f32 v[78:79], v[44:45], s[36:37] op_sel_hi:[0,1]
	s_mov_b32 s38, s23
	s_mov_b32 s39, s1
	v_pk_add_f32 v[96:97], v[0:1], v[96:97] op_sel:[1,0]
	v_pk_fma_f32 v[80:81], v[40:41], s[34:35], v[78:79] op_sel_hi:[0,1,1]
	s_mov_b32 s36, s21
	s_mov_b32 s37, s0
	v_pk_mul_f32 v[82:83], v[44:45], s[38:39] op_sel:[1,0]
	s_mov_b32 s40, s1
	s_mov_b32 s41, s20
	v_pk_add_f32 v[76:77], v[96:97], v[76:77]
	v_pk_fma_f32 v[84:85], v[40:41], s[36:37], v[82:83] op_sel:[1,0,0]
	s_mov_b32 s38, s0
	s_mov_b32 s39, s22
	v_pk_mul_f32 v[88:89], v[38:39], s[40:41] op_sel:[1,0]
	s_mov_b32 s43, 0x3f7ee86f
	s_mov_b32 s42, s10
	v_pk_add_f32 v[76:77], v[76:77], v[80:81]
	v_pk_fma_f32 v[90:91], v[42:43], s[38:39], v[88:89] op_sel:[1,0,0]
	s_mov_b32 s40, s12
	s_mov_b32 s41, s6
	v_pk_mul_f32 v[92:93], v[38:39], s[42:43] op_sel_hi:[0,1]
	v_pk_add_f32 v[76:77], v[76:77], v[84:85]
	s_mov_b32 s26, 0x3f4c4adb
	v_pk_fma_f32 v[34:35], v[28:29], s[44:45], v[34:35] op_sel:[1,0,0] neg_lo:[0,0,1] neg_hi:[0,0,1]
	v_pk_fma_f32 v[94:95], v[42:43], s[40:41], v[92:93] op_sel_hi:[0,1,1]
	v_pk_add_f32 v[76:77], v[90:91], v[76:77]
	s_mov_b32 s46, s17
	s_mov_b32 s47, s21
	v_pk_mul_f32 v[80:81], v[8:9], s[26:27] op_sel_hi:[0,1]
	v_pk_fma_f32 v[74:75], v[10:11], s[30:31], v[74:75] op_sel:[1,0,0] neg_lo:[0,0,1] neg_hi:[0,0,1]
	v_pk_add_f32 v[34:35], v[0:1], v[34:35] op_sel:[1,0]
	v_pk_add_f32 v[76:77], v[94:95], v[76:77]
	v_pk_fma_f32 v[84:85], v[2:3], s[46:47], v[80:81] op_sel:[1,0,0]
	s_mov_b32 s48, s11
	s_mov_b32 s49, s19
	v_pk_fma_f32 v[78:79], v[40:41], s[34:35], v[78:79] op_sel_hi:[0,1,1] neg_lo:[0,0,1] neg_hi:[0,0,1]
	v_pk_add_f32 v[34:35], v[34:35], v[74:75]
	v_pk_add_f32 v[76:77], v[84:85], v[76:77]
	s_mov_b32 s16, s13
	v_pk_mul_f32 v[84:85], v[6:7], s[48:49] op_sel_hi:[0,1]
	v_pk_fma_f32 v[82:83], v[40:41], s[36:37], v[82:83] op_sel:[1,0,0] neg_lo:[0,0,1] neg_hi:[0,0,1]
	v_pk_add_f32 v[34:35], v[34:35], v[78:79]
	v_pk_fma_f32 v[90:91], v[4:5], s[16:17], v[84:85] op_sel:[1,0,0]
	v_pk_fma_f32 v[88:89], v[42:43], s[38:39], v[88:89] op_sel:[1,0,0] neg_lo:[0,0,1] neg_hi:[0,0,1]
	v_pk_add_f32 v[34:35], v[34:35], v[82:83]
	v_pk_add_f32 v[76:77], v[90:91], v[76:77]
	v_pk_fma_f32 v[90:91], v[42:43], s[40:41], v[92:93] op_sel_hi:[0,1,1] neg_lo:[0,0,1] neg_hi:[0,0,1]
	v_pk_add_f32 v[34:35], v[88:89], v[34:35]
	s_mov_b32 s34, s27
	s_mov_b32 s35, s7
	v_pk_add_f32 v[34:35], v[90:91], v[34:35]
	v_pk_fma_f32 v[74:75], v[2:3], s[46:47], v[80:81] op_sel:[1,0,0] neg_lo:[0,0,1] neg_hi:[0,0,1]
	s_mov_b32 s30, s19
	s_mov_b32 s31, s10
	v_pk_mul_f32 v[78:79], v[44:45], s[34:35] op_sel_hi:[0,1]
	s_mov_b32 s35, s26
	s_mov_b32 s26, s43
	;; [unrolled: 1-line block ×4, first 2 shown]
	v_pk_add_f32 v[34:35], v[74:75], v[34:35]
	v_pk_fma_f32 v[74:75], v[4:5], s[16:17], v[84:85] op_sel:[1,0,0] neg_lo:[0,0,1] neg_hi:[0,0,1]
	v_pk_mul_f32 v[24:25], v[24:25], s[30:31] op_sel_hi:[0,1]
	s_mov_b32 s28, s29
	s_mov_b32 s29, s18
	v_pk_mul_f32 v[84:85], v[38:39], s[26:27] op_sel:[1,0]
	v_pk_mul_f32 v[38:39], v[38:39], s[24:25] op_sel_hi:[0,1]
	s_mov_b32 s24, s17
	s_mov_b32 s25, s12
	;; [unrolled: 1-line block ×4, first 2 shown]
	v_pk_mul_f32 v[18:19], v[18:19], s[28:29] op_sel_hi:[0,1]
	v_pk_fma_f32 v[92:93], v[28:29], s[24:25], v[24:25] op_sel:[1,0,0]
	v_pk_add_f32 v[34:35], v[74:75], v[34:35]
	v_pk_fma_f32 v[74:75], v[10:11], s[30:31], v[18:19] op_sel:[1,0,0]
	s_mov_b32 s28, s21
	s_mov_b32 s29, s6
	;; [unrolled: 1-line block ×3, first 2 shown]
	v_pk_add_f32 v[92:93], v[0:1], v[92:93] op_sel:[1,0]
	v_pk_fma_f32 v[24:25], v[28:29], s[24:25], v[24:25] op_sel:[1,0,0] neg_lo:[0,0,1] neg_hi:[0,0,1]
	v_pk_fma_f32 v[80:81], v[40:41], s[28:29], v[78:79] op_sel_hi:[0,1,1]
	s_mov_b32 s16, s12
	v_pk_mul_f32 v[44:45], v[44:45], s[34:35] op_sel:[1,0]
	v_pk_add_f32 v[74:75], v[92:93], v[74:75]
	v_pk_fma_f32 v[10:11], v[10:11], s[30:31], v[18:19] op_sel:[1,0,0] neg_lo:[0,0,1] neg_hi:[0,0,1]
	v_pk_add_f32 v[0:1], v[0:1], v[24:25] op_sel:[1,0]
	v_pk_fma_f32 v[82:83], v[40:41], s[16:17], v[44:45] op_sel:[1,0,0]
	s_mov_b32 s7, s21
	v_pk_add_f32 v[74:75], v[74:75], v[80:81]
	v_pk_fma_f32 v[18:19], v[40:41], s[28:29], v[78:79] op_sel_hi:[0,1,1] neg_lo:[0,0,1] neg_hi:[0,0,1]
	v_pk_add_f32 v[0:1], v[0:1], v[10:11]
	v_pk_fma_f32 v[88:89], v[42:43], s[6:7], v[84:85] op_sel:[1,0,0]
	s_mov_b32 s26, s13
	s_mov_b32 s27, s22
	v_pk_add_f32 v[74:75], v[74:75], v[82:83]
	s_mov_b32 s21, s11
	v_pk_fma_f32 v[40:41], v[40:41], s[16:17], v[44:45] op_sel:[1,0,0] neg_lo:[0,0,1] neg_hi:[0,0,1]
	v_pk_add_f32 v[0:1], v[0:1], v[18:19]
	v_pk_fma_f32 v[90:91], v[42:43], s[26:27], v[38:39] op_sel_hi:[0,1,1]
	v_pk_add_f32 v[74:75], v[88:89], v[74:75]
	s_mov_b32 s23, s13
	v_pk_mul_f32 v[8:9], v[8:9], s[20:21] op_sel_hi:[0,1]
	v_pk_fma_f32 v[44:45], v[42:43], s[6:7], v[84:85] op_sel:[1,0,0] neg_lo:[0,0,1] neg_hi:[0,0,1]
	v_pk_add_f32 v[0:1], v[0:1], v[40:41]
	v_pk_add_f32 v[74:75], v[90:91], v[74:75]
	v_pk_fma_f32 v[80:81], v[2:3], s[22:23], v[8:9] op_sel:[1,0,0]
	s_mov_b32 s19, s15
	v_pk_fma_f32 v[38:39], v[42:43], s[26:27], v[38:39] op_sel_hi:[0,1,1] neg_lo:[0,0,1] neg_hi:[0,0,1]
	v_pk_add_f32 v[0:1], v[44:45], v[0:1]
	v_pk_add_f32 v[74:75], v[80:81], v[74:75]
	s_mov_b32 s1, s14
	v_pk_mul_f32 v[80:81], v[6:7], s[18:19] op_sel_hi:[0,1]
	v_pk_add_f32 v[0:1], v[38:39], v[0:1]
	v_pk_fma_f32 v[2:3], v[2:3], s[22:23], v[8:9] op_sel:[1,0,0] neg_lo:[0,0,1] neg_hi:[0,0,1]
	v_mul_f32_e32 v32, 0x3f7ee86f, v6
	v_pk_add_f32 v[0:1], v[2:3], v[0:1]
	v_pk_fma_f32 v[2:3], v[4:5], s[0:1], v[80:81] op_sel:[1,0,0] neg_lo:[0,0,1] neg_hi:[0,0,1]
	v_pk_fma_f32 v[82:83], v[4:5], s[0:1], v[80:81] op_sel:[1,0,0]
	v_pk_add_f32 v[0:1], v[2:3], v[0:1]
	v_mul_f32_e32 v2, 0x3dbcf732, v5
	v_mov_b32_e32 v3, v30
	v_pk_add_f32 v[4:5], v[2:3], v[32:33]
	v_mov_b32_e32 v6, v14
	v_mov_b32_e32 v7, v2
	;; [unrolled: 1-line block ×4, first 2 shown]
	v_pk_add_f32 v[8:9], v[14:15], v[36:37]
	v_pk_add_f32 v[2:3], v[6:7], v[2:3] neg_lo:[0,1] neg_hi:[0,1]
	v_add_f32_e32 v17, v17, v27
	v_mov_b32_e32 v9, v3
	v_pk_add_f32 v[2:3], v[4:5], v[8:9]
	v_lshl_add_u32 v4, v86, 6, v26
	v_pk_add_f32 v[74:75], v[82:83], v[74:75]
	ds_write2_b32 v4, v20, v21 offset1:1
	ds_write2_b32 v4, v72, v73 offset0:2 offset1:3
	ds_write2_b32 v4, v76, v77 offset0:4 offset1:5
	;; [unrolled: 1-line block ×7, first 2 shown]
	ds_write_b32 v4, v17 offset:64
.LBB0_15:
	s_or_b64 exec, exec, s[2:3]
	v_add_u32_e32 v31, 0x77, v86
	s_movk_i32 s0, 0xf1
	v_mul_lo_u16_sdwa v17, v86, s0 dst_sel:DWORD dst_unused:UNUSED_PAD src0_sel:BYTE_0 src1_sel:DWORD
	v_mul_lo_u16_sdwa v33, v31, s0 dst_sel:DWORD dst_unused:UNUSED_PAD src0_sel:BYTE_0 src1_sel:DWORD
	v_lshrrev_b16_e32 v27, 12, v17
	v_lshrrev_b16_e32 v34, 12, v33
	v_mul_lo_u16_e32 v0, 17, v27
	v_mul_lo_u16_e32 v1, 17, v34
	v_sub_u16_e32 v32, v86, v0
	v_mov_b32_e32 v0, 3
	v_sub_u16_e32 v35, v31, v1
	s_mov_b32 s0, 0xf0f1
	v_lshlrev_b32_sdwa v8, v0, v32 dst_sel:DWORD dst_unused:UNUSED_PAD src0_sel:DWORD src1_sel:BYTE_0
	v_lshlrev_b32_sdwa v9, v0, v35 dst_sel:DWORD dst_unused:UNUSED_PAD src0_sel:DWORD src1_sel:BYTE_0
	v_mul_u32_u24_sdwa v0, v70, s0 dst_sel:DWORD dst_unused:UNUSED_PAD src0_sel:WORD_0 src1_sel:DWORD
	v_lshrrev_b32_e32 v36, 20, v0
	v_mul_lo_u16_e32 v0, 17, v36
	v_sub_u16_e32 v37, v70, v0
	v_mul_u32_u24_sdwa v0, v69, s0 dst_sel:DWORD dst_unused:UNUSED_PAD src0_sel:WORD_0 src1_sel:DWORD
	v_lshrrev_b32_e32 v38, 20, v0
	v_mul_lo_u16_e32 v0, 17, v38
	v_sub_u16_e32 v39, v69, v0
	s_waitcnt lgkmcnt(0)
	s_barrier
	v_lshlrev_b32_e32 v10, 3, v37
	v_lshlrev_b32_e32 v11, 3, v39
	global_load_dwordx2 v[0:1], v8, s[4:5]
	global_load_dwordx2 v[2:3], v9, s[4:5]
	;; [unrolled: 1-line block ×4, first 2 shown]
	v_mul_u32_u24_sdwa v9, v67, s0 dst_sel:DWORD dst_unused:UNUSED_PAD src0_sel:WORD_0 src1_sel:DWORD
	v_mul_u32_u24_sdwa v8, v68, s0 dst_sel:DWORD dst_unused:UNUSED_PAD src0_sel:WORD_0 src1_sel:DWORD
	v_lshrrev_b32_e32 v42, 20, v9
	v_add_u32_e32 v30, 0x2ca, v86
	v_lshrrev_b32_e32 v40, 20, v8
	v_mul_lo_u16_e32 v9, 17, v42
	v_mul_lo_u16_e32 v8, 17, v40
	v_sub_u16_e32 v43, v67, v9
	v_mul_u32_u24_sdwa v9, v30, s0 dst_sel:DWORD dst_unused:UNUSED_PAD src0_sel:WORD_0 src1_sel:DWORD
	v_sub_u16_e32 v41, v68, v8
	v_lshrrev_b32_e32 v44, 20, v9
	v_lshlrev_b32_e32 v8, 3, v41
	v_lshlrev_b32_e32 v10, 3, v43
	v_mul_lo_u16_e32 v11, 17, v44
	global_load_dwordx2 v[8:9], v8, s[4:5]
	v_sub_u16_e32 v45, v30, v11
	global_load_dwordx2 v[10:11], v10, s[4:5]
	v_lshlrev_b32_e32 v14, 3, v45
	global_load_dwordx2 v[14:15], v14, s[4:5]
	ds_read2_b32 v[18:19], v26 offset1:119
	ds_read2_b32 v[20:21], v58 offset0:74 offset1:193
	s_waitcnt vmcnt(7)
	ds_read2_b32 v[22:23], v16 offset0:56 offset1:175
	ds_read2_b32 v[24:25], v59 offset0:38 offset1:157
	ds_read_b32 v67, v56
	ds_read_b32 v65, v65
	;; [unrolled: 1-line block ×4, first 2 shown]
	ds_read2_b32 v[28:29], v60 offset0:20 offset1:139
	v_mul_u32_u24_e32 v27, 0x88, v27
	s_waitcnt lgkmcnt(0)
	s_barrier
	s_mov_b32 s1, 0x5040100
	s_movk_i32 s0, 0x88
	v_lshrrev_b16_e32 v17, 13, v17
	s_mov_b32 s2, 0x3f3bfb3b
	s_mov_b32 s3, 0xbeae86e6
	;; [unrolled: 1-line block ×7, first 2 shown]
	s_waitcnt vmcnt(6)
	v_mul_f32_e32 v69, v21, v1
	v_mul_f32_e32 v1, v47, v1
	s_waitcnt vmcnt(5)
	v_mul_f32_e32 v70, v22, v3
	v_mul_f32_e32 v3, v50, v3
	;; [unrolled: 3-line block ×4, first 2 shown]
	v_fma_f32 v47, v47, v0, -v69
	v_fmac_f32_e32 v1, v21, v0
	v_fma_f32 v0, v50, v2, -v70
	v_fmac_f32_e32 v3, v22, v2
	;; [unrolled: 2-line block ×4, first 2 shown]
	v_sub_f32_e32 v0, v49, v0
	v_fma_f32 v22, v49, 2.0, -v0
	s_waitcnt vmcnt(2)
	v_mul_f32_e32 v73, v25, v9
	v_mul_f32_e32 v9, v53, v9
	s_waitcnt vmcnt(1)
	v_mul_f32_e32 v74, v28, v11
	v_mul_f32_e32 v11, v54, v11
	v_fma_f32 v6, v53, v8, -v73
	v_fmac_f32_e32 v9, v25, v8
	v_fma_f32 v8, v54, v10, -v74
	v_fmac_f32_e32 v11, v28, v10
	v_sub_f32_e32 v8, v61, v8
	s_waitcnt vmcnt(0)
	v_mul_f32_e32 v75, v29, v15
	v_mul_f32_e32 v15, v55, v15
	v_sub_f32_e32 v49, v66, v11
	v_fma_f32 v11, v61, 2.0, -v8
	v_mov_b32_e32 v61, 2
	v_fma_f32 v10, v55, v14, -v75
	v_fmac_f32_e32 v15, v29, v14
	v_sub_f32_e32 v14, v48, v47
	v_lshlrev_b32_sdwa v29, v61, v32 dst_sel:DWORD dst_unused:UNUSED_PAD src0_sel:DWORD src1_sel:BYTE_0
	v_sub_f32_e32 v21, v18, v1
	v_fma_f32 v1, v48, 2.0, -v14
	v_add3_u32 v32, 0, v27, v29
	ds_write2_b32 v32, v1, v14 offset1:17
	v_mul_u32_u24_e32 v1, 0x88, v34
	v_lshlrev_b32_sdwa v14, v61, v35 dst_sel:DWORD dst_unused:UNUSED_PAD src0_sel:DWORD src1_sel:BYTE_0
	v_add3_u32 v34, 0, v1, v14
	ds_write2_b32 v34, v22, v0 offset1:17
	v_perm_b32 v0, v38, v36, s1
	v_pk_mul_lo_u16 v0, v0, s0 op_sel_hi:[1,0]
	v_sub_f32_e32 v2, v64, v2
	v_and_b32_e32 v1, 0xfff8, v0
	v_lshlrev_b32_e32 v14, 2, v37
	v_fma_f32 v23, v64, 2.0, -v2
	v_add3_u32 v22, 0, v1, v14
	v_lshrrev_b32_e32 v0, 16, v0
	v_lshlrev_b32_e32 v1, 2, v39
	v_sub_f32_e32 v4, v63, v4
	ds_write2_b32 v22, v23, v2 offset1:17
	v_add3_u32 v2, 0, v0, v1
	v_perm_b32 v0, v42, v40, s1
	v_fma_f32 v25, v63, 2.0, -v4
	v_pk_mul_lo_u16 v0, v0, s0 op_sel_hi:[1,0]
	v_sub_f32_e32 v6, v62, v6
	ds_write2_b32 v2, v25, v4 offset1:17
	v_and_b32_e32 v1, 0xfff8, v0
	v_lshlrev_b32_e32 v4, 2, v41
	v_fma_f32 v28, v62, 2.0, -v6
	v_add3_u32 v4, 0, v1, v4
	v_lshrrev_b32_e32 v0, 16, v0
	v_lshlrev_b32_e32 v1, 2, v43
	v_sub_f32_e32 v10, v46, v10
	ds_write2_b32 v4, v28, v6 offset1:17
	v_add3_u32 v6, 0, v0, v1
	v_mul_u32_u24_e32 v0, 0x88, v44
	v_lshlrev_b32_e32 v1, 2, v45
	v_fma_f32 v18, v18, 2.0, -v21
	v_sub_f32_e32 v3, v19, v3
	v_sub_f32_e32 v5, v67, v5
	;; [unrolled: 1-line block ×5, first 2 shown]
	v_fma_f32 v15, v46, 2.0, -v10
	ds_write2_b32 v6, v11, v8 offset1:17
	v_add3_u32 v8, 0, v0, v1
	v_add_u32_e32 v27, 0x580, v26
	v_fma_f32 v19, v19, 2.0, -v3
	v_fma_f32 v24, v67, 2.0, -v5
	;; [unrolled: 1-line block ×6, first 2 shown]
	ds_write2_b32 v8, v15, v10 offset1:17
	s_waitcnt lgkmcnt(0)
	s_barrier
	ds_read2_b32 v[0:1], v26 offset1:119
	ds_read_b32 v62, v56
	ds_read_b32 v63, v57
	ds_read2_b32 v[10:11], v58 offset0:74 offset1:193
	ds_read2_b32 v[14:15], v16 offset0:56 offset1:175
	ds_read2_b32 v[28:29], v59 offset0:38 offset1:157
	ds_read2_b32 v[40:41], v60 offset0:20 offset1:139
	ds_read2_b32 v[42:43], v27 offset0:5 offset1:243
	s_waitcnt lgkmcnt(0)
	s_barrier
	ds_write2_b32 v32, v18, v21 offset1:17
	ds_write2_b32 v34, v19, v3 offset1:17
	;; [unrolled: 1-line block ×7, first 2 shown]
	v_mul_lo_u16_e32 v2, 34, v17
	v_sub_u16_e32 v64, v86, v2
	v_mov_b32_e32 v22, 6
	v_mul_u32_u24_sdwa v2, v64, v22 dst_sel:DWORD dst_unused:UNUSED_PAD src0_sel:BYTE_0 src1_sel:DWORD
	v_lshlrev_b32_e32 v23, 3, v2
	s_waitcnt lgkmcnt(0)
	s_barrier
	global_load_dwordx4 v[2:5], v23, s[4:5] offset:136
	global_load_dwordx4 v[6:9], v23, s[4:5] offset:152
	;; [unrolled: 1-line block ×3, first 2 shown]
	v_lshrrev_b16_e32 v65, 13, v33
	v_mul_lo_u16_e32 v23, 34, v65
	v_sub_u16_e32 v66, v31, v23
	v_mul_u32_u24_sdwa v22, v66, v22 dst_sel:DWORD dst_unused:UNUSED_PAD src0_sel:BYTE_0 src1_sel:DWORD
	v_lshlrev_b32_e32 v44, 3, v22
	global_load_dwordx4 v[22:25], v44, s[4:5] offset:136
	global_load_dwordx4 v[32:35], v44, s[4:5] offset:152
	;; [unrolled: 1-line block ×3, first 2 shown]
	ds_read2_b32 v[44:45], v26 offset1:119
	ds_read_b32 v67, v56
	ds_read_b32 v68, v57
	ds_read2_b32 v[46:47], v58 offset0:74 offset1:193
	ds_read2_b32 v[48:49], v16 offset0:56 offset1:175
	;; [unrolled: 1-line block ×5, first 2 shown]
	s_mov_b32 s0, 0x3f5ff5aa
	s_mov_b32 s1, 0xbf3bfb3b
	s_waitcnt lgkmcnt(0)
	s_barrier
	s_waitcnt vmcnt(5)
	v_mul_f32_e32 v69, v67, v3
	v_mul_f32_e32 v3, v62, v3
	v_fma_f32 v69, v62, v2, -v69
	v_fmac_f32_e32 v3, v67, v2
	v_mul_f32_e32 v2, v68, v5
	v_mul_f32_e32 v5, v63, v5
	v_fma_f32 v2, v63, v4, -v2
	v_fmac_f32_e32 v5, v68, v4
	s_waitcnt vmcnt(4)
	v_mul_f32_e32 v4, v46, v7
	v_mul_f32_e32 v7, v10, v7
	v_fma_f32 v4, v10, v6, -v4
	v_fmac_f32_e32 v7, v46, v6
	v_mul_f32_e32 v6, v48, v9
	v_mul_f32_e32 v9, v14, v9
	v_fma_f32 v6, v14, v8, -v6
	v_fmac_f32_e32 v9, v48, v8
	;; [unrolled: 9-line block ×4, first 2 shown]
	s_waitcnt vmcnt(1)
	v_mul_f32_e32 v24, v49, v35
	v_mul_f32_e32 v23, v47, v33
	v_fma_f32 v24, v15, v34, -v24
	v_mul_f32_e32 v15, v15, v35
	v_fma_f32 v23, v11, v32, -v23
	v_mul_f32_e32 v11, v11, v33
	v_fmac_f32_e32 v15, v49, v34
	s_waitcnt vmcnt(0)
	v_mul_f32_e32 v25, v51, v37
	v_add_f32_e32 v33, v69, v14
	v_add_f32_e32 v34, v3, v18
	v_sub_f32_e32 v3, v3, v18
	v_add_f32_e32 v18, v2, v8
	v_fmac_f32_e32 v11, v47, v32
	v_fma_f32 v25, v29, v36, -v25
	v_mul_f32_e32 v28, v29, v37
	v_mul_f32_e32 v29, v53, v39
	;; [unrolled: 1-line block ×3, first 2 shown]
	v_add_f32_e32 v35, v5, v10
	v_sub_f32_e32 v2, v2, v8
	v_sub_f32_e32 v5, v5, v10
	v_add_f32_e32 v8, v4, v6
	v_add_f32_e32 v10, v7, v9
	v_sub_f32_e32 v4, v6, v4
	v_sub_f32_e32 v6, v9, v7
	v_add_f32_e32 v7, v18, v33
	v_fmac_f32_e32 v28, v51, v36
	v_fma_f32 v29, v41, v38, -v29
	v_fmac_f32_e32 v32, v53, v38
	v_sub_f32_e32 v14, v69, v14
	v_add_f32_e32 v9, v35, v34
	v_sub_f32_e32 v36, v18, v33
	v_sub_f32_e32 v37, v35, v34
	;; [unrolled: 1-line block ×5, first 2 shown]
	v_add_f32_e32 v38, v4, v2
	v_add_f32_e32 v39, v6, v5
	v_sub_f32_e32 v40, v4, v2
	v_sub_f32_e32 v41, v6, v5
	;; [unrolled: 1-line block ×3, first 2 shown]
	v_add_f32_e32 v7, v8, v7
	v_sub_f32_e32 v35, v10, v35
	v_sub_f32_e32 v4, v14, v4
	;; [unrolled: 1-line block ×4, first 2 shown]
	v_add_f32_e32 v8, v10, v9
	v_add_f32_e32 v9, v38, v14
	;; [unrolled: 1-line block ×4, first 2 shown]
	v_mul_f32_e32 v14, 0x3f4a47b2, v33
	v_mul_f32_e32 v33, 0x3f4a47b2, v34
	;; [unrolled: 1-line block ×6, first 2 shown]
	v_add_f32_e32 v10, v44, v8
	v_mul_f32_e32 v38, 0x3d64c772, v35
	v_mul_f32_e32 v41, 0x3f5ff5aa, v2
	v_fmamk_f32 v7, v7, 0xbf955555, v0
	v_fma_f32 v34, v36, s2, -v34
	v_fma_f32 v36, v36, s1, -v14
	v_fmac_f32_e32 v14, 0x3d64c772, v18
	v_fma_f32 v5, v5, s0, -v40
	v_fmac_f32_e32 v40, 0x3eae86e6, v6
	v_fma_f32 v6, v6, s3, -v42
	v_fmamk_f32 v8, v8, 0xbf955555, v10
	v_fma_f32 v38, v37, s2, -v38
	v_fma_f32 v18, v37, s1, -v33
	v_fmac_f32_e32 v33, 0x3d64c772, v35
	v_fma_f32 v2, v2, s0, -v39
	v_fmac_f32_e32 v39, 0x3eae86e6, v4
	v_fma_f32 v4, v4, s3, -v41
	v_add_f32_e32 v14, v14, v7
	v_add_f32_e32 v34, v34, v7
	v_add_f32_e32 v7, v36, v7
	v_fmac_f32_e32 v40, 0x3ee1c552, v3
	v_fmac_f32_e32 v6, 0x3ee1c552, v3
	v_add_f32_e32 v33, v33, v8
	v_add_f32_e32 v35, v38, v8
	;; [unrolled: 1-line block ×3, first 2 shown]
	v_fmac_f32_e32 v39, 0x3ee1c552, v9
	v_fmac_f32_e32 v5, 0x3ee1c552, v3
	;; [unrolled: 1-line block ×3, first 2 shown]
	v_add_f32_e32 v3, v40, v14
	v_add_f32_e32 v18, v6, v7
	v_sub_f32_e32 v6, v7, v6
	v_sub_f32_e32 v7, v14, v40
	v_add_f32_e32 v14, v19, v29
	v_sub_f32_e32 v19, v19, v29
	v_add_f32_e32 v29, v21, v25
	v_fmac_f32_e32 v2, 0x3ee1c552, v9
	v_sub_f32_e32 v9, v33, v39
	v_sub_f32_e32 v36, v8, v4
	v_add_f32_e32 v4, v4, v8
	v_add_f32_e32 v8, v39, v33
	;; [unrolled: 1-line block ×3, first 2 shown]
	v_sub_f32_e32 v20, v20, v32
	v_add_f32_e32 v32, v22, v28
	v_sub_f32_e32 v21, v21, v25
	v_sub_f32_e32 v22, v22, v28
	v_add_f32_e32 v25, v23, v24
	v_add_f32_e32 v28, v11, v15
	v_sub_f32_e32 v23, v24, v23
	v_sub_f32_e32 v11, v15, v11
	v_add_f32_e32 v15, v29, v14
	v_sub_f32_e32 v37, v34, v5
	v_add_f32_e32 v38, v2, v35
	v_add_f32_e32 v5, v5, v34
	v_sub_f32_e32 v2, v35, v2
	v_add_f32_e32 v24, v32, v33
	v_sub_f32_e32 v34, v29, v14
	v_sub_f32_e32 v35, v32, v33
	;; [unrolled: 1-line block ×5, first 2 shown]
	v_add_f32_e32 v40, v11, v22
	v_sub_f32_e32 v41, v23, v21
	v_sub_f32_e32 v42, v11, v22
	;; [unrolled: 1-line block ×3, first 2 shown]
	v_add_f32_e32 v15, v25, v15
	v_sub_f32_e32 v11, v20, v11
	v_add_f32_e32 v20, v40, v20
	v_add_f32_e32 v1, v1, v15
	v_mul_f32_e32 v14, 0x3f4a47b2, v14
	v_mul_f32_e32 v25, 0x3f4a47b2, v33
	;; [unrolled: 1-line block ×6, first 2 shown]
	v_sub_f32_e32 v32, v28, v32
	v_add_f32_e32 v39, v23, v21
	v_sub_f32_e32 v21, v21, v19
	v_fmamk_f32 v15, v15, 0xbf955555, v1
	v_fma_f32 v33, v34, s2, -v33
	v_fma_f32 v34, v34, s1, -v14
	v_fmac_f32_e32 v14, 0x3d64c772, v29
	v_fma_f32 v22, v22, s0, -v41
	v_fmac_f32_e32 v41, 0x3eae86e6, v11
	v_fma_f32 v11, v11, s3, -v43
	v_sub_f32_e32 v23, v19, v23
	v_add_f32_e32 v19, v39, v19
	v_mul_f32_e32 v39, 0x3d64c772, v32
	v_mul_f32_e32 v42, 0x3f5ff5aa, v21
	v_fma_f32 v29, v35, s1, -v25
	v_fmac_f32_e32 v25, 0x3d64c772, v32
	v_add_f32_e32 v14, v14, v15
	v_add_f32_e32 v32, v33, v15
	;; [unrolled: 1-line block ×3, first 2 shown]
	v_fmac_f32_e32 v11, 0x3ee1c552, v20
	v_add_f32_e32 v24, v28, v24
	v_fma_f32 v21, v21, s0, -v40
	v_fmac_f32_e32 v40, 0x3eae86e6, v23
	v_fma_f32 v23, v23, s3, -v42
	v_fmac_f32_e32 v41, 0x3ee1c552, v20
	v_fmac_f32_e32 v22, 0x3ee1c552, v20
	v_add_f32_e32 v20, v11, v15
	v_sub_f32_e32 v11, v15, v11
	v_mul_u32_u24_e32 v15, 0x3b8, v17
	v_lshlrev_b32_sdwa v17, v61, v64 dst_sel:DWORD dst_unused:UNUSED_PAD src0_sel:DWORD src1_sel:BYTE_0
	v_add_f32_e32 v28, v45, v24
	v_fmac_f32_e32 v40, 0x3ee1c552, v19
	v_fmac_f32_e32 v21, 0x3ee1c552, v19
	v_fmac_f32_e32 v23, 0x3ee1c552, v19
	v_add_f32_e32 v19, v41, v14
	v_sub_f32_e32 v14, v14, v41
	v_add3_u32 v41, 0, v15, v17
	v_fmamk_f32 v24, v24, 0xbf955555, v28
	v_fma_f32 v39, v35, s2, -v39
	ds_write2_b32 v41, v0, v3 offset1:34
	ds_write2_b32 v41, v18, v37 offset0:68 offset1:102
	ds_write2_b32 v41, v5, v6 offset0:136 offset1:170
	ds_write_b32 v41, v7 offset:816
	v_mul_u32_u24_e32 v0, 0x3b8, v65
	v_lshlrev_b32_sdwa v3, v61, v66 dst_sel:DWORD dst_unused:UNUSED_PAD src0_sel:DWORD src1_sel:BYTE_0
	v_add_f32_e32 v25, v25, v24
	v_add_f32_e32 v33, v39, v24
	;; [unrolled: 1-line block ×3, first 2 shown]
	v_sub_f32_e32 v35, v32, v22
	v_add_f32_e32 v22, v22, v32
	v_add3_u32 v0, 0, v0, v3
	v_sub_f32_e32 v29, v25, v40
	v_sub_f32_e32 v34, v24, v23
	v_add_f32_e32 v39, v21, v33
	v_sub_f32_e32 v32, v33, v21
	v_add_f32_e32 v33, v23, v24
	v_add_f32_e32 v40, v40, v25
	ds_write2_b32 v0, v1, v19 offset1:34
	ds_write2_b32 v0, v20, v35 offset0:68 offset1:102
	ds_write2_b32 v0, v22, v11 offset0:136 offset1:170
	ds_write_b32 v0, v14 offset:816
	s_waitcnt lgkmcnt(0)
	s_barrier
	ds_read2_b32 v[14:15], v26 offset1:119
	ds_read_b32 v51, v56
	ds_read_b32 v52, v57
	ds_read2_b32 v[20:21], v58 offset0:74 offset1:193
	ds_read2_b32 v[16:17], v16 offset0:56 offset1:175
	;; [unrolled: 1-line block ×5, first 2 shown]
	s_waitcnt lgkmcnt(0)
	s_barrier
	ds_write2_b32 v41, v10, v9 offset1:34
	ds_write2_b32 v41, v36, v38 offset0:68 offset1:102
	ds_write2_b32 v41, v2, v4 offset0:136 offset1:170
	ds_write_b32 v41, v8 offset:816
	ds_write2_b32 v0, v28, v29 offset1:34
	ds_write2_b32 v0, v34, v39 offset0:68 offset1:102
	ds_write2_b32 v0, v32, v33 offset0:136 offset1:170
	ds_write_b32 v0, v40 offset:816
	s_waitcnt lgkmcnt(0)
	s_barrier
	s_and_saveexec_b64 s[14:15], vcc
	s_cbranch_execz .LBB0_17
; %bb.16:
	v_mul_u32_u24_e32 v0, 6, v31
	v_lshlrev_b32_e32 v28, 3, v0
	v_mul_u32_u24_e32 v8, 6, v86
	global_load_dwordx4 v[0:3], v28, s[4:5] offset:1768
	global_load_dwordx4 v[4:7], v28, s[4:5] offset:1800
	v_lshlrev_b32_e32 v29, 3, v8
	global_load_dwordx4 v[58:61], v29, s[4:5] offset:1768
	global_load_dwordx4 v[62:65], v29, s[4:5] offset:1800
	global_load_dwordx4 v[8:11], v28, s[4:5] offset:1784
	global_load_dwordx4 v[66:69], v29, s[4:5] offset:1784
	ds_read2_b32 v[28:29], v27 offset0:5 offset1:243
	v_add_u32_e32 v36, 0x1600, v26
	v_add_u32_e32 v37, 0xe00, v26
	;; [unrolled: 1-line block ×4, first 2 shown]
	ds_read2_b32 v[26:27], v26 offset1:119
	ds_read_b32 v55, v56
	ds_read_b32 v56, v57
	v_mad_u64_u32 v[32:33], s[4:5], s8, v86, 0
	v_add_u32_e32 v53, 0xee, v86
	v_add_u32_e32 v57, 0x1dc, v86
	v_mad_u64_u32 v[34:35], s[4:5], s8, v30, 0
	v_add_u32_e32 v78, 0x3b8, v86
	ds_read2_b32 v[44:45], v36 offset0:20 offset1:139
	ds_read2_b32 v[42:43], v37 offset0:56 offset1:175
	;; [unrolled: 1-line block ×4, first 2 shown]
	v_mov_b32_e32 v36, v33
	v_mad_u64_u32 v[38:39], s[4:5], s8, v53, 0
	v_mad_u64_u32 v[40:41], s[4:5], s8, v57, 0
	v_mov_b32_e32 v50, v35
	v_add_u32_e32 v83, 0x4a6, v86
	v_mad_u64_u32 v[70:71], s[4:5], s8, v78, 0
	v_mad_u64_u32 v[36:37], s[4:5], s9, v86, v[36:37]
	v_mov_b32_e32 v54, v39
	v_mov_b32_e32 v74, v41
	v_mad_u64_u32 v[76:77], s[4:5], s9, v30, v[50:51]
	v_mad_u64_u32 v[72:73], s[4:5], s8, v83, 0
	v_mov_b32_e32 v30, v71
	v_mov_b32_e32 v33, v36
	s_waitcnt lgkmcnt(5)
	v_mad_u64_u32 v[36:37], s[4:5], s9, v53, v[54:55]
	v_mad_u64_u32 v[74:75], s[4:5], s9, v57, v[74:75]
	v_mov_b32_e32 v35, v76
	v_mov_b32_e32 v50, v73
	v_mad_u64_u32 v[76:77], s[4:5], s9, v78, v[30:31]
	v_mov_b32_e32 v39, v36
	v_mov_b32_e32 v41, v74
	v_lshl_add_u64 v[74:75], v[34:35], 3, v[12:13]
	v_mov_b32_e32 v71, v76
	v_lshl_add_u64 v[76:77], v[38:39], 3, v[12:13]
	v_lshl_add_u64 v[80:81], v[40:41], 3, v[12:13]
	v_mad_u64_u32 v[94:95], s[4:5], s9, v83, v[50:51]
	v_lshl_add_u64 v[78:79], v[32:33], 3, v[12:13]
	v_mov_b32_e32 v73, v94
	s_waitcnt lgkmcnt(0)
	v_mov_b32_e32 v98, v48
	v_mov_b32_e32 v99, v46
	;; [unrolled: 1-line block ×6, first 2 shown]
	s_mov_b32 s14, 0x3f955555
	s_mov_b32 s16, s11
	;; [unrolled: 1-line block ×3, first 2 shown]
	s_movk_i32 s1, 0x594
	v_lshl_add_u64 v[70:71], v[70:71], 3, v[12:13]
	v_lshl_add_u64 v[72:73], v[72:73], 3, v[12:13]
	v_mov_b32_e32 v42, v29
	s_waitcnt vmcnt(3)
	v_mul_f32_e32 v33, v55, v59
	s_waitcnt vmcnt(2)
	v_mul_f32_e32 v34, v44, v65
	v_mul_f32_e32 v38, v25, v5
	;; [unrolled: 1-line block ×3, first 2 shown]
	v_fma_f32 v89, v22, v64, -v34
	v_add_u32_e32 v34, 0x594, v86
	v_mul_f32_e32 v32, v45, v7
	v_fmac_f32_e32 v38, v4, v49
	v_fmac_f32_e32 v40, v2, v29
	v_mad_u64_u32 v[94:95], s[4:5], s8, v34, 0
	v_fma_f32 v37, v23, v6, -v32
	v_fma_f32 v87, v51, v58, -v33
	v_add_f32_e32 v33, v40, v38
	v_mov_b32_e32 v32, v95
	v_mad_u64_u32 v[96:97], s[4:5], s9, v34, v[32:33]
	v_mov_b32_e32 v95, v96
	v_mov_b32_e32 v96, v63
	s_waitcnt vmcnt(0)
	v_mov_b32_e32 v97, v66
	v_mul_f32_e32 v82, v24, v63
	v_pk_mul_f32 v[96:97], v[96:97], v[98:99]
	v_mov_b32_e32 v98, v24
	v_mov_b32_e32 v99, v20
	;; [unrolled: 1-line block ×3, first 2 shown]
	v_mul_f32_e32 v84, v52, v61
	v_fmac_f32_e32 v82, v62, v48
	v_pk_fma_f32 v[100:101], v[24:25], v[62:63], v[96:97] neg_lo:[0,0,1] neg_hi:[0,0,1]
	v_pk_fma_f32 v[62:63], v[98:99], v[62:63], v[96:97]
	v_mov_b32_e32 v96, v61
	v_mov_b32_e32 v97, v68
	v_fmac_f32_e32 v84, v60, v56
	v_pk_mul_f32 v[56:57], v[96:97], v[56:57]
	v_mov_b32_e32 v61, v69
	v_pk_fma_f32 v[96:97], v[52:53], v[60:61], v[56:57] neg_lo:[0,0,1] neg_hi:[0,0,1]
	v_pk_fma_f32 v[52:53], v[52:53], v[60:61], v[56:57]
	v_mov_b32_e32 v60, v67
	v_mov_b32_e32 v61, v64
	;; [unrolled: 1-line block ×4, first 2 shown]
	v_pk_mul_f32 v[60:61], v[60:61], v[98:99]
	v_mov_b32_e32 v98, v20
	v_mov_b32_e32 v99, v22
	;; [unrolled: 1-line block ×3, first 2 shown]
	v_pk_fma_f32 v[64:65], v[20:21], v[66:67], v[60:61] neg_lo:[0,0,1] neg_hi:[0,0,1]
	v_pk_fma_f32 v[60:61], v[98:99], v[66:67], v[60:61]
	v_mov_b32_e32 v66, v69
	v_mov_b32_e32 v67, v58
	v_pk_mul_f32 v[54:55], v[66:67], v[54:55]
	v_mov_b32_e32 v69, v59
	v_pk_fma_f32 v[58:59], v[50:51], v[68:69], v[54:55] neg_lo:[0,0,1] neg_hi:[0,0,1]
	v_pk_fma_f32 v[50:51], v[50:51], v[68:69], v[54:55]
	v_mov_b32_e32 v101, v63
	v_mov_b32_e32 v97, v53
	;; [unrolled: 1-line block ×4, first 2 shown]
	v_add_f32_e32 v91, v84, v82
	v_add_f32_e32 v92, v87, v89
	v_pk_add_f32 v[54:55], v[58:59], v[64:65]
	v_pk_add_f32 v[68:69], v[96:97], v[100:101]
	v_pk_add_f32 v[56:57], v[96:97], v[100:101] neg_lo:[0,1] neg_hi:[0,1]
	v_add_f32_e32 v67, v55, v91
	v_add_f32_e32 v102, v92, v68
	v_mov_b32_e32 v103, v69
	v_mov_b32_e32 v66, v54
	;; [unrolled: 1-line block ×4, first 2 shown]
	v_pk_add_f32 v[66:67], v[102:103], v[66:67]
	v_mov_b32_e32 v102, v14
	v_mov_b32_e32 v58, v61
	;; [unrolled: 1-line block ×3, first 2 shown]
	v_pk_add_f32 v[60:61], v[84:85], v[82:83] neg_lo:[0,1] neg_hi:[0,1]
	v_mov_b32_e32 v14, v51
	v_mov_b32_e32 v39, v56
	;; [unrolled: 1-line block ×4, first 2 shown]
	v_pk_add_f32 v[50:51], v[14:15], v[58:59] neg_lo:[0,1] neg_hi:[0,1]
	v_pk_add_f32 v[58:59], v[60:61], v[38:39]
	v_pk_add_f32 v[52:53], v[86:87], v[88:89] neg_lo:[0,1] neg_hi:[0,1]
	v_mov_b32_e32 v93, v69
	v_mov_b32_e32 v90, v54
	;; [unrolled: 1-line block ×7, first 2 shown]
	v_pk_add_f32 v[96:97], v[92:93], v[90:91] neg_lo:[0,1] neg_hi:[0,1]
	v_mov_b32_e32 v103, v26
	v_pk_add_f32 v[58:59], v[58:59], v[62:63] neg_lo:[0,1] neg_hi:[0,1]
	v_pk_add_f32 v[82:83], v[52:53], v[60:61]
	v_pk_mul_f32 v[96:97], v[96:97], s[12:13]
	v_pk_add_f32 v[98:99], v[54:55], v[68:69] neg_lo:[0,1] neg_hi:[0,1]
	s_mov_b32 s4, s13
	s_mov_b32 s5, s12
	v_pk_add_f32 v[102:103], v[102:103], v[66:67]
	v_pk_mul_f32 v[58:59], v[58:59], s[10:11]
	v_pk_add_f32 v[62:63], v[52:53], v[60:61] neg_lo:[0,1] neg_hi:[0,1]
	v_mov_b32_e32 v83, v53
	v_pk_mul_f32 v[100:101], v[98:99], s[4:5]
	v_pk_fma_f32 v[98:99], v[98:99], s[4:5], v[96:97]
	v_pk_fma_f32 v[66:67], v[66:67], s[14:15], v[102:103] op_sel_hi:[1,0,1] neg_lo:[1,0,0] neg_hi:[1,0,0]
	v_pk_mul_f32 v[64:65], v[62:63], s[16:17]
	v_pk_fma_f32 v[62:63], v[62:63], s[16:17], v[58:59]
	v_pk_add_f32 v[82:83], v[82:83], v[50:51]
	v_pk_add_f32 v[98:99], v[98:99], v[66:67]
	v_pk_fma_f32 v[62:63], v[82:83], s[6:7], v[62:63] op_sel_hi:[1,0,1]
	global_store_dwordx2 v[78:79], v[102:103], off
	v_pk_add_f32 v[84:85], v[98:99], v[62:63] neg_lo:[0,1] neg_hi:[0,1]
	v_pk_add_f32 v[62:63], v[98:99], v[62:63]
	v_mov_b32_e32 v79, v85
	v_mov_b32_e32 v78, v62
	;; [unrolled: 1-line block ×4, first 2 shown]
	global_store_dwordx2 v[76:77], v[78:79], off
	v_mov_b32_e32 v76, v96
	v_mov_b32_e32 v77, v101
	v_pk_add_f32 v[54:55], v[68:69], v[92:93] neg_lo:[0,1] neg_hi:[0,1]
	v_mov_b32_e32 v61, v56
	v_mov_b32_e32 v51, v53
	;; [unrolled: 1-line block ×3, first 2 shown]
	v_pk_fma_f32 v[68:69], v[54:55], s[2:3], v[76:77] op_sel_hi:[1,0,1] neg_lo:[1,0,1] neg_hi:[1,0,1]
	v_pk_add_f32 v[50:51], v[60:61], v[50:51] neg_lo:[0,1] neg_hi:[0,1]
	v_mov_b32_e32 v52, v58
	v_mov_b32_e32 v53, v65
	;; [unrolled: 1-line block ×3, first 2 shown]
	v_pk_fma_f32 v[54:55], v[54:55], s[2:3], v[100:101] op_sel_hi:[1,0,1] neg_lo:[0,0,1] neg_hi:[0,0,1]
	s_mov_b32 s3, 0x44d72045
	v_pk_fma_f32 v[52:53], v[50:51], s[0:1], v[52:53] op_sel_hi:[1,0,1] neg_lo:[1,0,1] neg_hi:[1,0,1]
	v_pk_fma_f32 v[50:51], v[50:51], s[0:1], v[64:65] op_sel_hi:[1,0,1] neg_lo:[0,0,1] neg_hi:[0,0,1]
	v_mul_hi_u32 v14, v31, s3
	v_pk_fma_f32 v[50:51], v[82:83], s[6:7], v[50:51] op_sel_hi:[1,0,1]
	v_pk_add_f32 v[54:55], v[54:55], v[66:67]
	v_lshrrev_b32_e32 v14, 6, v14
	v_pk_add_f32 v[58:59], v[54:55], v[50:51]
	v_pk_add_f32 v[50:51], v[54:55], v[50:51] neg_lo:[0,1] neg_hi:[0,1]
	v_mad_u32_u24 v16, v14, s1, v31
	v_pk_add_f32 v[68:69], v[68:69], v[66:67]
	v_pk_fma_f32 v[52:53], v[82:83], s[6:7], v[52:53] op_sel_hi:[1,0,1]
	v_mov_b32_e32 v54, v50
	v_mov_b32_e32 v55, v59
	;; [unrolled: 1-line block ×3, first 2 shown]
	v_mad_u64_u32 v[50:51], s[18:19], s8, v16, 0
	v_pk_add_f32 v[56:57], v[68:69], v[52:53] neg_lo:[0,1] neg_hi:[0,1]
	v_pk_add_f32 v[52:53], v[68:69], v[52:53]
	v_mov_b32_e32 v14, v51
	v_mov_b32_e32 v60, v52
	;; [unrolled: 1-line block ×4, first 2 shown]
	v_mad_u64_u32 v[52:53], s[18:19], s9, v16, v[14:15]
	v_add_u32_e32 v20, 0xee, v16
	v_mov_b32_e32 v51, v52
	v_mad_u64_u32 v[52:53], s[18:19], s8, v20, 0
	v_mov_b32_e32 v14, v53
	global_store_dwordx2 v[80:81], v[60:61], off
	global_store_dwordx2 v[74:75], v[54:55], off
	v_mad_u64_u32 v[54:55], s[18:19], s9, v20, v[14:15]
	v_add_u32_e32 v20, 0x1dc, v16
	v_mov_b32_e32 v53, v54
	v_mad_u64_u32 v[54:55], s[18:19], s8, v20, 0
	v_mov_b32_e32 v14, v55
	global_store_dwordx2 v[70:71], v[58:59], off
	global_store_dwordx2 v[72:73], v[56:57], off
	v_mad_u64_u32 v[56:57], s[18:19], s9, v20, v[14:15]
	v_add_u32_e32 v20, 0x2ca, v16
	v_mov_b32_e32 v55, v56
	v_mad_u64_u32 v[56:57], s[18:19], s8, v20, 0
	v_mov_b32_e32 v14, v57
	v_mad_u64_u32 v[58:59], s[18:19], s9, v20, v[14:15]
	v_add_u32_e32 v20, 0x3b8, v16
	v_mov_b32_e32 v57, v58
	v_mad_u64_u32 v[58:59], s[18:19], s8, v20, 0
	v_mov_b32_e32 v14, v59
	v_mad_u64_u32 v[60:61], s[18:19], s9, v20, v[14:15]
	v_add_u32_e32 v20, 0x4a6, v16
	v_mov_b32_e32 v59, v60
	v_mad_u64_u32 v[60:61], s[18:19], s8, v20, 0
	v_mov_b32_e32 v14, v61
	v_mov_b32_e32 v85, v63
	v_mad_u64_u32 v[62:63], s[18:19], s9, v20, v[14:15]
	v_add_u32_e32 v16, 0x594, v16
	v_mov_b32_e32 v61, v62
	v_mad_u64_u32 v[62:63], s[18:19], s8, v16, 0
	v_mov_b32_e32 v14, v63
	v_mad_u64_u32 v[64:65], s[8:9], s9, v16, v[14:15]
	v_mov_b32_e32 v63, v64
	v_lshl_add_u64 v[94:95], v[94:95], 3, v[12:13]
	v_lshl_add_u64 v[50:51], v[50:51], 3, v[12:13]
	;; [unrolled: 1-line block ×8, first 2 shown]
	v_mov_b32_e32 v62, v5
	v_mov_b32_e32 v63, v8
	;; [unrolled: 1-line block ×3, first 2 shown]
	v_pk_mul_f32 v[48:49], v[62:63], v[46:47]
	v_mov_b32_e32 v14, v25
	v_mov_b32_e32 v20, v25
	;; [unrolled: 1-line block ×3, first 2 shown]
	v_pk_fma_f32 v[24:25], v[14:15], v[4:5], v[48:49] neg_lo:[0,0,1] neg_hi:[0,0,1]
	v_pk_fma_f32 v[4:5], v[20:21], v[4:5], v[48:49]
	v_mov_b32_e32 v48, v3
	v_mov_b32_e32 v49, v10
	v_pk_mul_f32 v[48:49], v[48:49], v[42:43]
	v_mov_b32_e32 v4, v19
	v_mov_b32_e32 v16, v19
	;; [unrolled: 1-line block ×3, first 2 shown]
	v_pk_fma_f32 v[62:63], v[4:5], v[2:3], v[48:49] neg_lo:[0,0,1] neg_hi:[0,0,1]
	v_pk_fma_f32 v[2:3], v[16:17], v[2:3], v[48:49]
	v_mov_b32_e32 v64, v9
	v_mov_b32_e32 v65, v6
	;; [unrolled: 1-line block ×3, first 2 shown]
	v_pk_mul_f32 v[44:45], v[64:65], v[44:45]
	v_mov_b32_e32 v2, v21
	v_mov_b32_e32 v22, v21
	;; [unrolled: 1-line block ×3, first 2 shown]
	v_pk_fma_f32 v[6:7], v[2:3], v[8:9], v[44:45] neg_lo:[0,0,1] neg_hi:[0,0,1]
	v_pk_fma_f32 v[8:9], v[22:23], v[8:9], v[44:45]
	v_mov_b32_e32 v20, v11
	v_mov_b32_e32 v21, v0
	v_mov_b32_e32 v22, v43
	v_mov_b32_e32 v23, v28
	v_mul_f32_e32 v30, v28, v1
	v_pk_mul_f32 v[20:21], v[20:21], v[22:23]
	v_mov_b32_e32 v16, v17
	v_mov_b32_e32 v17, v18
	;; [unrolled: 1-line block ×3, first 2 shown]
	v_fma_f32 v35, v18, v0, -v30
	v_mov_b32_e32 v25, v5
	v_mov_b32_e32 v63, v3
	v_pk_fma_f32 v[0:1], v[16:17], v[10:11], v[20:21] neg_lo:[0,0,1] neg_hi:[0,0,1]
	v_pk_fma_f32 v[10:11], v[16:17], v[10:11], v[20:21]
	v_pk_add_f32 v[48:49], v[62:63], v[24:25] neg_lo:[0,1] neg_hi:[0,1]
	v_mov_b32_e32 v7, v9
	v_mov_b32_e32 v1, v11
	;; [unrolled: 1-line block ×4, first 2 shown]
	v_add_f32_e32 v30, v35, v37
	v_pk_add_f32 v[16:17], v[0:1], v[6:7]
	v_pk_add_f32 v[20:21], v[62:63], v[24:25]
	v_mov_b32_e32 v0, v9
	v_mov_b32_e32 v1, v6
	v_pk_add_f32 v[6:7], v[40:41], v[38:39] neg_lo:[0,1] neg_hi:[0,1]
	v_mov_b32_e32 v2, v11
	v_mov_b32_e32 v9, v48
	;; [unrolled: 1-line block ×4, first 2 shown]
	v_add_f32_e32 v19, v17, v33
	v_add_f32_e32 v42, v30, v20
	v_mov_b32_e32 v43, v21
	v_mov_b32_e32 v18, v16
	v_pk_add_f32 v[0:1], v[2:3], v[0:1] neg_lo:[0,1] neg_hi:[0,1]
	v_pk_add_f32 v[8:9], v[6:7], v[8:9]
	v_pk_add_f32 v[2:3], v[34:35], v[36:37] neg_lo:[0,1] neg_hi:[0,1]
	v_mov_b32_e32 v31, v21
	v_mov_b32_e32 v32, v16
	v_pk_add_f32 v[18:19], v[42:43], v[18:19]
	v_mov_b32_e32 v26, v15
	v_mov_b32_e32 v1, v9
	;; [unrolled: 1-line block ×6, first 2 shown]
	v_pk_add_f32 v[22:23], v[30:31], v[32:33] neg_lo:[0,1] neg_hi:[0,1]
	v_pk_add_f32 v[14:15], v[26:27], v[18:19]
	v_pk_add_f32 v[4:5], v[4:5], v[8:9] neg_lo:[0,1] neg_hi:[0,1]
	v_pk_add_f32 v[26:27], v[2:3], v[6:7]
	v_pk_mul_f32 v[22:23], v[22:23], s[12:13]
	v_pk_add_f32 v[24:25], v[16:17], v[20:21] neg_lo:[0,1] neg_hi:[0,1]
	v_pk_mul_f32 v[4:5], v[4:5], s[10:11]
	v_pk_add_f32 v[8:9], v[2:3], v[6:7] neg_lo:[0,1] neg_hi:[0,1]
	v_mov_b32_e32 v27, v3
	v_pk_mul_f32 v[28:29], v[24:25], s[4:5]
	v_pk_fma_f32 v[24:25], v[24:25], s[4:5], v[22:23]
	v_pk_fma_f32 v[18:19], v[18:19], s[14:15], v[14:15] op_sel_hi:[1,0,1] neg_lo:[1,0,0] neg_hi:[1,0,0]
	v_pk_mul_f32 v[10:11], v[8:9], s[16:17]
	v_pk_fma_f32 v[8:9], v[8:9], s[16:17], v[4:5]
	v_pk_add_f32 v[26:27], v[26:27], v[0:1]
	v_pk_add_f32 v[24:25], v[24:25], v[18:19]
	v_pk_fma_f32 v[8:9], v[26:27], s[6:7], v[8:9] op_sel_hi:[1,0,1]
	global_store_dwordx2 v[94:95], v[84:85], off
	v_pk_add_f32 v[34:35], v[24:25], v[8:9] neg_lo:[0,1] neg_hi:[0,1]
	v_pk_add_f32 v[8:9], v[24:25], v[8:9]
	global_store_dwordx2 v[50:51], v[14:15], off
	v_mov_b32_e32 v14, v8
	v_mov_b32_e32 v15, v35
	;; [unrolled: 1-line block ×6, first 2 shown]
	global_store_dwordx2 v[52:53], v[14:15], off
	v_mov_b32_e32 v14, v22
	v_mov_b32_e32 v15, v29
	v_pk_add_f32 v[16:17], v[20:21], v[30:31] neg_lo:[0,1] neg_hi:[0,1]
	v_pk_add_f32 v[0:1], v[6:7], v[0:1] neg_lo:[0,1] neg_hi:[0,1]
	v_mov_b32_e32 v2, v4
	v_mov_b32_e32 v3, v11
	;; [unrolled: 1-line block ×4, first 2 shown]
	v_pk_fma_f32 v[14:15], v[16:17], s[2:3], v[14:15] op_sel_hi:[1,0,1] neg_lo:[1,0,1] neg_hi:[1,0,1]
	v_pk_fma_f32 v[2:3], v[0:1], s[0:1], v[2:3] op_sel_hi:[1,0,1] neg_lo:[1,0,1] neg_hi:[1,0,1]
	;; [unrolled: 1-line block ×4, first 2 shown]
	v_pk_add_f32 v[14:15], v[14:15], v[18:19]
	v_pk_fma_f32 v[2:3], v[26:27], s[6:7], v[2:3] op_sel_hi:[1,0,1]
	v_pk_fma_f32 v[0:1], v[26:27], s[6:7], v[0:1] op_sel_hi:[1,0,1]
	v_pk_add_f32 v[4:5], v[4:5], v[18:19]
	v_pk_add_f32 v[6:7], v[14:15], v[2:3] neg_lo:[0,1] neg_hi:[0,1]
	v_pk_add_f32 v[2:3], v[14:15], v[2:3]
	v_pk_add_f32 v[10:11], v[4:5], v[0:1]
	v_pk_add_f32 v[0:1], v[4:5], v[0:1] neg_lo:[0,1] neg_hi:[0,1]
	v_mov_b32_e32 v14, v2
	v_mov_b32_e32 v15, v7
	v_mov_b32_e32 v4, v0
	v_mov_b32_e32 v5, v11
	v_mov_b32_e32 v11, v1
	v_mov_b32_e32 v7, v3
	v_mov_b32_e32 v35, v9
	global_store_dwordx2 v[54:55], v[14:15], off
	global_store_dwordx2 v[56:57], v[4:5], off
	;; [unrolled: 1-line block ×5, first 2 shown]
.LBB0_17:
	s_endpgm
	.section	.rodata,"a",@progbits
	.p2align	6, 0x0
	.amdhsa_kernel fft_rtc_fwd_len1666_factors_17_2_7_7_wgs_119_tpt_119_halfLds_sp_ip_CI_sbrr_dirReg
		.amdhsa_group_segment_fixed_size 0
		.amdhsa_private_segment_fixed_size 0
		.amdhsa_kernarg_size 88
		.amdhsa_user_sgpr_count 2
		.amdhsa_user_sgpr_dispatch_ptr 0
		.amdhsa_user_sgpr_queue_ptr 0
		.amdhsa_user_sgpr_kernarg_segment_ptr 1
		.amdhsa_user_sgpr_dispatch_id 0
		.amdhsa_user_sgpr_kernarg_preload_length 0
		.amdhsa_user_sgpr_kernarg_preload_offset 0
		.amdhsa_user_sgpr_private_segment_size 0
		.amdhsa_uses_dynamic_stack 0
		.amdhsa_enable_private_segment 0
		.amdhsa_system_sgpr_workgroup_id_x 1
		.amdhsa_system_sgpr_workgroup_id_y 0
		.amdhsa_system_sgpr_workgroup_id_z 0
		.amdhsa_system_sgpr_workgroup_info 0
		.amdhsa_system_vgpr_workitem_id 0
		.amdhsa_next_free_vgpr 139
		.amdhsa_next_free_sgpr 76
		.amdhsa_accum_offset 140
		.amdhsa_reserve_vcc 1
		.amdhsa_float_round_mode_32 0
		.amdhsa_float_round_mode_16_64 0
		.amdhsa_float_denorm_mode_32 3
		.amdhsa_float_denorm_mode_16_64 3
		.amdhsa_dx10_clamp 1
		.amdhsa_ieee_mode 1
		.amdhsa_fp16_overflow 0
		.amdhsa_tg_split 0
		.amdhsa_exception_fp_ieee_invalid_op 0
		.amdhsa_exception_fp_denorm_src 0
		.amdhsa_exception_fp_ieee_div_zero 0
		.amdhsa_exception_fp_ieee_overflow 0
		.amdhsa_exception_fp_ieee_underflow 0
		.amdhsa_exception_fp_ieee_inexact 0
		.amdhsa_exception_int_div_zero 0
	.end_amdhsa_kernel
	.text
.Lfunc_end0:
	.size	fft_rtc_fwd_len1666_factors_17_2_7_7_wgs_119_tpt_119_halfLds_sp_ip_CI_sbrr_dirReg, .Lfunc_end0-fft_rtc_fwd_len1666_factors_17_2_7_7_wgs_119_tpt_119_halfLds_sp_ip_CI_sbrr_dirReg
                                        ; -- End function
	.section	.AMDGPU.csdata,"",@progbits
; Kernel info:
; codeLenInByte = 12408
; NumSgprs: 82
; NumVgprs: 139
; NumAgprs: 0
; TotalNumVgprs: 139
; ScratchSize: 0
; MemoryBound: 0
; FloatMode: 240
; IeeeMode: 1
; LDSByteSize: 0 bytes/workgroup (compile time only)
; SGPRBlocks: 10
; VGPRBlocks: 17
; NumSGPRsForWavesPerEU: 82
; NumVGPRsForWavesPerEU: 139
; AccumOffset: 140
; Occupancy: 3
; WaveLimiterHint : 1
; COMPUTE_PGM_RSRC2:SCRATCH_EN: 0
; COMPUTE_PGM_RSRC2:USER_SGPR: 2
; COMPUTE_PGM_RSRC2:TRAP_HANDLER: 0
; COMPUTE_PGM_RSRC2:TGID_X_EN: 1
; COMPUTE_PGM_RSRC2:TGID_Y_EN: 0
; COMPUTE_PGM_RSRC2:TGID_Z_EN: 0
; COMPUTE_PGM_RSRC2:TIDIG_COMP_CNT: 0
; COMPUTE_PGM_RSRC3_GFX90A:ACCUM_OFFSET: 34
; COMPUTE_PGM_RSRC3_GFX90A:TG_SPLIT: 0
	.text
	.p2alignl 6, 3212836864
	.fill 256, 4, 3212836864
	.type	__hip_cuid_f6f5f6ed4970b2e0,@object ; @__hip_cuid_f6f5f6ed4970b2e0
	.section	.bss,"aw",@nobits
	.globl	__hip_cuid_f6f5f6ed4970b2e0
__hip_cuid_f6f5f6ed4970b2e0:
	.byte	0                               ; 0x0
	.size	__hip_cuid_f6f5f6ed4970b2e0, 1

	.ident	"AMD clang version 19.0.0git (https://github.com/RadeonOpenCompute/llvm-project roc-6.4.0 25133 c7fe45cf4b819c5991fe208aaa96edf142730f1d)"
	.section	".note.GNU-stack","",@progbits
	.addrsig
	.addrsig_sym __hip_cuid_f6f5f6ed4970b2e0
	.amdgpu_metadata
---
amdhsa.kernels:
  - .agpr_count:     0
    .args:
      - .actual_access:  read_only
        .address_space:  global
        .offset:         0
        .size:           8
        .value_kind:     global_buffer
      - .offset:         8
        .size:           8
        .value_kind:     by_value
      - .actual_access:  read_only
        .address_space:  global
        .offset:         16
        .size:           8
        .value_kind:     global_buffer
      - .actual_access:  read_only
        .address_space:  global
        .offset:         24
        .size:           8
        .value_kind:     global_buffer
      - .offset:         32
        .size:           8
        .value_kind:     by_value
      - .actual_access:  read_only
        .address_space:  global
        .offset:         40
        .size:           8
        .value_kind:     global_buffer
      - .actual_access:  read_only
        .address_space:  global
        .offset:         48
        .size:           8
        .value_kind:     global_buffer
      - .offset:         56
        .size:           4
        .value_kind:     by_value
      - .actual_access:  read_only
        .address_space:  global
        .offset:         64
        .size:           8
        .value_kind:     global_buffer
      - .actual_access:  read_only
        .address_space:  global
        .offset:         72
        .size:           8
        .value_kind:     global_buffer
      - .address_space:  global
        .offset:         80
        .size:           8
        .value_kind:     global_buffer
    .group_segment_fixed_size: 0
    .kernarg_segment_align: 8
    .kernarg_segment_size: 88
    .language:       OpenCL C
    .language_version:
      - 2
      - 0
    .max_flat_workgroup_size: 119
    .name:           fft_rtc_fwd_len1666_factors_17_2_7_7_wgs_119_tpt_119_halfLds_sp_ip_CI_sbrr_dirReg
    .private_segment_fixed_size: 0
    .sgpr_count:     82
    .sgpr_spill_count: 0
    .symbol:         fft_rtc_fwd_len1666_factors_17_2_7_7_wgs_119_tpt_119_halfLds_sp_ip_CI_sbrr_dirReg.kd
    .uniform_work_group_size: 1
    .uses_dynamic_stack: false
    .vgpr_count:     139
    .vgpr_spill_count: 0
    .wavefront_size: 64
amdhsa.target:   amdgcn-amd-amdhsa--gfx950
amdhsa.version:
  - 1
  - 2
...

	.end_amdgpu_metadata
